;; amdgpu-corpus repo=ROCm/rocFFT kind=compiled arch=gfx1030 opt=O3
	.text
	.amdgcn_target "amdgcn-amd-amdhsa--gfx1030"
	.amdhsa_code_object_version 6
	.protected	fft_rtc_back_len1575_factors_3_3_5_7_5_wgs_63_tpt_63_halfLds_dp_op_CI_CI_unitstride_sbrr_dirReg ; -- Begin function fft_rtc_back_len1575_factors_3_3_5_7_5_wgs_63_tpt_63_halfLds_dp_op_CI_CI_unitstride_sbrr_dirReg
	.globl	fft_rtc_back_len1575_factors_3_3_5_7_5_wgs_63_tpt_63_halfLds_dp_op_CI_CI_unitstride_sbrr_dirReg
	.p2align	8
	.type	fft_rtc_back_len1575_factors_3_3_5_7_5_wgs_63_tpt_63_halfLds_dp_op_CI_CI_unitstride_sbrr_dirReg,@function
fft_rtc_back_len1575_factors_3_3_5_7_5_wgs_63_tpt_63_halfLds_dp_op_CI_CI_unitstride_sbrr_dirReg: ; @fft_rtc_back_len1575_factors_3_3_5_7_5_wgs_63_tpt_63_halfLds_dp_op_CI_CI_unitstride_sbrr_dirReg
; %bb.0:
	s_clause 0x2
	s_load_dwordx4 s[12:15], s[4:5], 0x0
	s_load_dwordx4 s[8:11], s[4:5], 0x58
	;; [unrolled: 1-line block ×3, first 2 shown]
	v_mul_u32_u24_e32 v1, 0x411, v0
	v_mov_b32_e32 v3, 0
	v_add_nc_u32_sdwa v5, s6, v1 dst_sel:DWORD dst_unused:UNUSED_PAD src0_sel:DWORD src1_sel:WORD_1
	v_mov_b32_e32 v1, 0
	v_mov_b32_e32 v6, v3
	v_mov_b32_e32 v2, 0
	s_waitcnt lgkmcnt(0)
	v_cmp_lt_u64_e64 s0, s[14:15], 2
	s_and_b32 vcc_lo, exec_lo, s0
	s_cbranch_vccnz .LBB0_8
; %bb.1:
	s_load_dwordx2 s[0:1], s[4:5], 0x10
	v_mov_b32_e32 v1, 0
	v_mov_b32_e32 v2, 0
	s_add_u32 s2, s18, 8
	s_addc_u32 s3, s19, 0
	s_add_u32 s6, s16, 8
	s_addc_u32 s7, s17, 0
	v_mov_b32_e32 v157, v2
	v_mov_b32_e32 v156, v1
	s_mov_b64 s[22:23], 1
	s_waitcnt lgkmcnt(0)
	s_add_u32 s20, s0, 8
	s_addc_u32 s21, s1, 0
.LBB0_2:                                ; =>This Inner Loop Header: Depth=1
	s_load_dwordx2 s[24:25], s[20:21], 0x0
                                        ; implicit-def: $vgpr158_vgpr159
	s_mov_b32 s0, exec_lo
	s_waitcnt lgkmcnt(0)
	v_or_b32_e32 v4, s25, v6
	v_cmpx_ne_u64_e32 0, v[3:4]
	s_xor_b32 s1, exec_lo, s0
	s_cbranch_execz .LBB0_4
; %bb.3:                                ;   in Loop: Header=BB0_2 Depth=1
	v_cvt_f32_u32_e32 v4, s24
	v_cvt_f32_u32_e32 v7, s25
	s_sub_u32 s0, 0, s24
	s_subb_u32 s26, 0, s25
	v_fmac_f32_e32 v4, 0x4f800000, v7
	v_rcp_f32_e32 v4, v4
	v_mul_f32_e32 v4, 0x5f7ffffc, v4
	v_mul_f32_e32 v7, 0x2f800000, v4
	v_trunc_f32_e32 v7, v7
	v_fmac_f32_e32 v4, 0xcf800000, v7
	v_cvt_u32_f32_e32 v7, v7
	v_cvt_u32_f32_e32 v4, v4
	v_mul_lo_u32 v8, s0, v7
	v_mul_hi_u32 v9, s0, v4
	v_mul_lo_u32 v10, s26, v4
	v_add_nc_u32_e32 v8, v9, v8
	v_mul_lo_u32 v9, s0, v4
	v_add_nc_u32_e32 v8, v8, v10
	v_mul_hi_u32 v10, v4, v9
	v_mul_lo_u32 v11, v4, v8
	v_mul_hi_u32 v12, v4, v8
	v_mul_hi_u32 v13, v7, v9
	v_mul_lo_u32 v9, v7, v9
	v_mul_hi_u32 v14, v7, v8
	v_mul_lo_u32 v8, v7, v8
	v_add_co_u32 v10, vcc_lo, v10, v11
	v_add_co_ci_u32_e32 v11, vcc_lo, 0, v12, vcc_lo
	v_add_co_u32 v9, vcc_lo, v10, v9
	v_add_co_ci_u32_e32 v9, vcc_lo, v11, v13, vcc_lo
	v_add_co_ci_u32_e32 v10, vcc_lo, 0, v14, vcc_lo
	v_add_co_u32 v8, vcc_lo, v9, v8
	v_add_co_ci_u32_e32 v9, vcc_lo, 0, v10, vcc_lo
	v_add_co_u32 v4, vcc_lo, v4, v8
	v_add_co_ci_u32_e32 v7, vcc_lo, v7, v9, vcc_lo
	v_mul_hi_u32 v8, s0, v4
	v_mul_lo_u32 v10, s26, v4
	v_mul_lo_u32 v9, s0, v7
	v_add_nc_u32_e32 v8, v8, v9
	v_mul_lo_u32 v9, s0, v4
	v_add_nc_u32_e32 v8, v8, v10
	v_mul_hi_u32 v10, v4, v9
	v_mul_lo_u32 v11, v4, v8
	v_mul_hi_u32 v12, v4, v8
	v_mul_hi_u32 v13, v7, v9
	v_mul_lo_u32 v9, v7, v9
	v_mul_hi_u32 v14, v7, v8
	v_mul_lo_u32 v8, v7, v8
	v_add_co_u32 v10, vcc_lo, v10, v11
	v_add_co_ci_u32_e32 v11, vcc_lo, 0, v12, vcc_lo
	v_add_co_u32 v9, vcc_lo, v10, v9
	v_add_co_ci_u32_e32 v9, vcc_lo, v11, v13, vcc_lo
	v_add_co_ci_u32_e32 v10, vcc_lo, 0, v14, vcc_lo
	v_add_co_u32 v8, vcc_lo, v9, v8
	v_add_co_ci_u32_e32 v9, vcc_lo, 0, v10, vcc_lo
	v_add_co_u32 v4, vcc_lo, v4, v8
	v_add_co_ci_u32_e32 v11, vcc_lo, v7, v9, vcc_lo
	v_mul_hi_u32 v13, v5, v4
	v_mad_u64_u32 v[9:10], null, v6, v4, 0
	v_mad_u64_u32 v[7:8], null, v5, v11, 0
	;; [unrolled: 1-line block ×3, first 2 shown]
	v_add_co_u32 v4, vcc_lo, v13, v7
	v_add_co_ci_u32_e32 v7, vcc_lo, 0, v8, vcc_lo
	v_add_co_u32 v4, vcc_lo, v4, v9
	v_add_co_ci_u32_e32 v4, vcc_lo, v7, v10, vcc_lo
	v_add_co_ci_u32_e32 v7, vcc_lo, 0, v12, vcc_lo
	v_add_co_u32 v4, vcc_lo, v4, v11
	v_add_co_ci_u32_e32 v9, vcc_lo, 0, v7, vcc_lo
	v_mul_lo_u32 v10, s25, v4
	v_mad_u64_u32 v[7:8], null, s24, v4, 0
	v_mul_lo_u32 v11, s24, v9
	v_sub_co_u32 v7, vcc_lo, v5, v7
	v_add3_u32 v8, v8, v11, v10
	v_sub_nc_u32_e32 v10, v6, v8
	v_subrev_co_ci_u32_e64 v10, s0, s25, v10, vcc_lo
	v_add_co_u32 v11, s0, v4, 2
	v_add_co_ci_u32_e64 v12, s0, 0, v9, s0
	v_sub_co_u32 v13, s0, v7, s24
	v_sub_co_ci_u32_e32 v8, vcc_lo, v6, v8, vcc_lo
	v_subrev_co_ci_u32_e64 v10, s0, 0, v10, s0
	v_cmp_le_u32_e32 vcc_lo, s24, v13
	v_cmp_eq_u32_e64 s0, s25, v8
	v_cndmask_b32_e64 v13, 0, -1, vcc_lo
	v_cmp_le_u32_e32 vcc_lo, s25, v10
	v_cndmask_b32_e64 v14, 0, -1, vcc_lo
	v_cmp_le_u32_e32 vcc_lo, s24, v7
	;; [unrolled: 2-line block ×3, first 2 shown]
	v_cndmask_b32_e64 v15, 0, -1, vcc_lo
	v_cmp_eq_u32_e32 vcc_lo, s25, v10
	v_cndmask_b32_e64 v7, v15, v7, s0
	v_cndmask_b32_e32 v10, v14, v13, vcc_lo
	v_add_co_u32 v13, vcc_lo, v4, 1
	v_add_co_ci_u32_e32 v14, vcc_lo, 0, v9, vcc_lo
	v_cmp_ne_u32_e32 vcc_lo, 0, v10
	v_cndmask_b32_e32 v8, v14, v12, vcc_lo
	v_cndmask_b32_e32 v10, v13, v11, vcc_lo
	v_cmp_ne_u32_e32 vcc_lo, 0, v7
	v_cndmask_b32_e32 v159, v9, v8, vcc_lo
	v_cndmask_b32_e32 v158, v4, v10, vcc_lo
.LBB0_4:                                ;   in Loop: Header=BB0_2 Depth=1
	s_andn2_saveexec_b32 s0, s1
	s_cbranch_execz .LBB0_6
; %bb.5:                                ;   in Loop: Header=BB0_2 Depth=1
	v_cvt_f32_u32_e32 v4, s24
	s_sub_i32 s1, 0, s24
	v_mov_b32_e32 v159, v3
	v_rcp_iflag_f32_e32 v4, v4
	v_mul_f32_e32 v4, 0x4f7ffffe, v4
	v_cvt_u32_f32_e32 v4, v4
	v_mul_lo_u32 v7, s1, v4
	v_mul_hi_u32 v7, v4, v7
	v_add_nc_u32_e32 v4, v4, v7
	v_mul_hi_u32 v4, v5, v4
	v_mul_lo_u32 v7, v4, s24
	v_add_nc_u32_e32 v8, 1, v4
	v_sub_nc_u32_e32 v7, v5, v7
	v_subrev_nc_u32_e32 v9, s24, v7
	v_cmp_le_u32_e32 vcc_lo, s24, v7
	v_cndmask_b32_e32 v7, v7, v9, vcc_lo
	v_cndmask_b32_e32 v4, v4, v8, vcc_lo
	v_cmp_le_u32_e32 vcc_lo, s24, v7
	v_add_nc_u32_e32 v8, 1, v4
	v_cndmask_b32_e32 v158, v4, v8, vcc_lo
.LBB0_6:                                ;   in Loop: Header=BB0_2 Depth=1
	s_or_b32 exec_lo, exec_lo, s0
	v_mul_lo_u32 v4, v159, s24
	v_mul_lo_u32 v9, v158, s25
	s_load_dwordx2 s[0:1], s[6:7], 0x0
	v_mad_u64_u32 v[7:8], null, v158, s24, 0
	s_load_dwordx2 s[24:25], s[2:3], 0x0
	s_add_u32 s22, s22, 1
	s_addc_u32 s23, s23, 0
	s_add_u32 s2, s2, 8
	s_addc_u32 s3, s3, 0
	s_add_u32 s6, s6, 8
	v_add3_u32 v4, v8, v9, v4
	v_sub_co_u32 v5, vcc_lo, v5, v7
	s_addc_u32 s7, s7, 0
	s_add_u32 s20, s20, 8
	v_sub_co_ci_u32_e32 v4, vcc_lo, v6, v4, vcc_lo
	s_addc_u32 s21, s21, 0
	s_waitcnt lgkmcnt(0)
	v_mul_lo_u32 v6, s0, v4
	v_mul_lo_u32 v7, s1, v5
	v_mad_u64_u32 v[1:2], null, s0, v5, v[1:2]
	v_mul_lo_u32 v4, s24, v4
	v_mul_lo_u32 v8, s25, v5
	v_mad_u64_u32 v[156:157], null, s24, v5, v[156:157]
	v_cmp_ge_u64_e64 s0, s[22:23], s[14:15]
	v_add3_u32 v2, v7, v2, v6
	v_add3_u32 v157, v8, v157, v4
	s_and_b32 vcc_lo, exec_lo, s0
	s_cbranch_vccnz .LBB0_9
; %bb.7:                                ;   in Loop: Header=BB0_2 Depth=1
	v_mov_b32_e32 v5, v158
	v_mov_b32_e32 v6, v159
	s_branch .LBB0_2
.LBB0_8:
	v_mov_b32_e32 v157, v2
	v_mov_b32_e32 v159, v6
	;; [unrolled: 1-line block ×4, first 2 shown]
.LBB0_9:
	s_load_dwordx2 s[0:1], s[4:5], 0x28
	v_mul_hi_u32 v3, 0x4104105, v0
	s_lshl_b64 s[4:5], s[14:15], 3
                                        ; implicit-def: $vgpr160
	s_add_u32 s2, s18, s4
	s_addc_u32 s3, s19, s5
	s_waitcnt lgkmcnt(0)
	v_cmp_gt_u64_e32 vcc_lo, s[0:1], v[158:159]
	v_cmp_le_u64_e64 s0, s[0:1], v[158:159]
	s_and_saveexec_b32 s1, s0
	s_xor_b32 s0, exec_lo, s1
; %bb.10:
	v_mul_u32_u24_e32 v1, 63, v3
                                        ; implicit-def: $vgpr3
	v_sub_nc_u32_e32 v160, v0, v1
                                        ; implicit-def: $vgpr0
                                        ; implicit-def: $vgpr1_vgpr2
; %bb.11:
	s_or_saveexec_b32 s1, s0
	s_load_dwordx2 s[2:3], s[2:3], 0x0
                                        ; implicit-def: $vgpr114_vgpr115
                                        ; implicit-def: $vgpr134_vgpr135
                                        ; implicit-def: $vgpr126_vgpr127
                                        ; implicit-def: $vgpr78_vgpr79
                                        ; implicit-def: $vgpr98_vgpr99
                                        ; implicit-def: $vgpr94_vgpr95
                                        ; implicit-def: $vgpr74_vgpr75
                                        ; implicit-def: $vgpr106_vgpr107
                                        ; implicit-def: $vgpr90_vgpr91
                                        ; implicit-def: $vgpr82_vgpr83
                                        ; implicit-def: $vgpr110_vgpr111
                                        ; implicit-def: $vgpr102_vgpr103
                                        ; implicit-def: $vgpr86_vgpr87
                                        ; implicit-def: $vgpr66_vgpr67
                                        ; implicit-def: $vgpr58_vgpr59
                                        ; implicit-def: $vgpr50_vgpr51
                                        ; implicit-def: $vgpr70_vgpr71
                                        ; implicit-def: $vgpr62_vgpr63
                                        ; implicit-def: $vgpr54_vgpr55
                                        ; implicit-def: $vgpr146_vgpr147
                                        ; implicit-def: $vgpr130_vgpr131
                                        ; implicit-def: $vgpr118_vgpr119
                                        ; implicit-def: $vgpr150_vgpr151
                                        ; implicit-def: $vgpr138_vgpr139
                                        ; implicit-def: $vgpr122_vgpr123
                                        ; implicit-def: $vgpr154_vgpr155
                                        ; implicit-def: $vgpr142_vgpr143
	s_xor_b32 exec_lo, exec_lo, s1
	s_cbranch_execz .LBB0_15
; %bb.12:
	s_add_u32 s4, s16, s4
	s_addc_u32 s5, s17, s5
	v_lshlrev_b64 v[1:2], 4, v[1:2]
	s_load_dwordx2 s[4:5], s[4:5], 0x0
                                        ; implicit-def: $vgpr124_vgpr125
                                        ; implicit-def: $vgpr132_vgpr133
                                        ; implicit-def: $vgpr112_vgpr113
	s_waitcnt lgkmcnt(0)
	v_mul_lo_u32 v6, s5, v158
	v_mul_lo_u32 v7, s4, v159
	v_mad_u64_u32 v[4:5], null, s4, v158, 0
	s_mov_b32 s4, exec_lo
	v_add3_u32 v5, v5, v7, v6
	v_mul_u32_u24_e32 v6, 63, v3
	v_lshlrev_b64 v[3:4], 4, v[4:5]
	v_sub_nc_u32_e32 v160, v0, v6
	v_add_co_u32 v0, s0, s8, v3
	v_add_co_ci_u32_e64 v3, s0, s9, v4, s0
	v_lshlrev_b32_e32 v4, 4, v160
	v_add_co_u32 v0, s0, v0, v1
	v_add_co_ci_u32_e64 v1, s0, v3, v2, s0
	v_add_co_u32 v0, s0, v0, v4
	v_add_co_ci_u32_e64 v1, s0, 0, v1, s0
	;; [unrolled: 2-line block ×10, first 2 shown]
	s_clause 0x5
	global_load_dwordx4 v[52:55], v[4:5], off offset:384
	global_load_dwordx4 v[68:71], v[8:9], off offset:1184
	;; [unrolled: 1-line block ×6, first 2 shown]
	v_add_co_u32 v10, s0, 0x3800, v0
	v_add_co_ci_u32_e64 v11, s0, 0, v1, s0
	v_add_co_u32 v18, s0, 0x5800, v0
	v_add_co_ci_u32_e64 v19, s0, 0, v1, s0
	;; [unrolled: 2-line block ×3, first 2 shown]
	s_clause 0x11
	global_load_dwordx4 v[84:87], v[14:15], off offset:352
	global_load_dwordx4 v[108:111], v[12:13], off offset:1152
	global_load_dwordx4 v[80:83], v[14:15], off offset:1360
	global_load_dwordx4 v[100:103], v[16:17], off offset:944
	global_load_dwordx4 v[88:91], v[16:17], off offset:1952
	global_load_dwordx4 v[104:107], v[10:11], off offset:112
	global_load_dwordx4 v[96:99], v[10:11], off offset:1120
	global_load_dwordx4 v[72:75], v[18:19], off offset:320
	global_load_dwordx4 v[148:151], v[6:7], off offset:1216
	global_load_dwordx4 v[120:123], v[2:3], off offset:416
	global_load_dwordx4 v[144:147], v[8:9], off offset:176
	global_load_dwordx4 v[116:119], v[2:3], off offset:1424
	global_load_dwordx4 v[76:79], v[18:19], off offset:1328
	global_load_dwordx4 v[92:95], v[4:5], off offset:912
	global_load_dwordx4 v[140:143], v[0:1], off
	global_load_dwordx4 v[136:139], v[0:1], off offset:1008
	global_load_dwordx4 v[152:155], v[6:7], off offset:208
	;; [unrolled: 1-line block ×3, first 2 shown]
	v_cmpx_gt_u32_e32 21, v160
; %bb.13:
	v_add_co_u32 v0, s0, 0x6000, v0
	v_add_co_ci_u32_e64 v1, s0, 0, v1, s0
	s_clause 0x2
	global_load_dwordx4 v[124:127], v[4:5], off offset:1920
	global_load_dwordx4 v[132:135], v[2:3], off offset:80
	;; [unrolled: 1-line block ×3, first 2 shown]
; %bb.14:
	s_or_b32 exec_lo, exec_lo, s4
.LBB0_15:
	s_or_b32 exec_lo, exec_lo, s1
	s_waitcnt vmcnt(1)
	v_add_f64 v[0:1], v[120:121], v[152:153]
	v_add_f64 v[6:7], v[116:117], v[148:149]
	;; [unrolled: 1-line block ×6, first 2 shown]
	s_waitcnt vmcnt(0)
	v_add_f64 v[34:35], v[112:113], v[132:133]
	v_add_f64 v[26:27], v[72:73], v[104:105]
	;; [unrolled: 1-line block ×3, first 2 shown]
	v_add_f64 v[4:5], v[154:155], -v[122:123]
	v_add_f64 v[30:31], v[76:77], v[96:97]
	v_add_f64 v[10:11], v[148:149], v[136:137]
	v_add_f64 v[12:13], v[150:151], -v[118:119]
	v_add_f64 v[16:17], v[144:145], v[128:129]
	v_add_f64 v[20:21], v[146:147], -v[54:55]
	v_add_f64 v[24:25], v[70:71], -v[50:51]
	v_add_f64 v[28:29], v[68:69], v[60:61]
	v_add_f64 v[32:33], v[64:65], v[56:57]
	v_add_f64 v[36:37], v[66:67], -v[86:87]
	s_mov_b32 s0, 0xe8584caa
	v_add_f64 v[38:39], v[108:109], v[100:101]
	s_mov_b32 s1, 0xbfebb67a
	v_fma_f64 v[0:1], v[0:1], -0.5, v[140:141]
	v_fma_f64 v[6:7], v[6:7], -0.5, v[136:137]
	;; [unrolled: 1-line block ×5, first 2 shown]
	v_add_f64 v[40:41], v[110:111], -v[82:83]
	v_add_f64 v[42:43], v[104:105], v[88:89]
	v_add_f64 v[128:129], v[134:135], -v[114:115]
	v_add_f64 v[60:61], v[132:133], v[124:125]
	v_fma_f64 v[22:23], v[22:23], -0.5, v[100:101]
	v_fma_f64 v[34:35], v[34:35], -0.5, v[124:125]
	v_add_f64 v[44:45], v[106:107], -v[74:75]
	v_fma_f64 v[26:27], v[26:27], -0.5, v[88:89]
	v_add_f64 v[136:137], v[96:97], v[92:93]
	v_add_f64 v[2:3], v[120:121], v[2:3]
	v_add_f64 v[46:47], v[98:99], -v[78:79]
	v_fma_f64 v[30:31], v[30:31], -0.5, v[92:93]
	s_mov_b32 s5, 0x3febb67a
	s_mov_b32 s4, s0
	v_add_f64 v[10:11], v[116:117], v[10:11]
	v_add_f64 v[16:17], v[52:53], v[16:17]
	v_mad_u32_u24 v162, v160, 24, 0
	v_fma_f64 v[88:89], v[4:5], s[0:1], v[0:1]
	v_fma_f64 v[92:93], v[12:13], s[0:1], v[6:7]
	;; [unrolled: 1-line block ×7, first 2 shown]
	v_add_f64 v[28:29], v[48:49], v[28:29]
	v_fma_f64 v[14:15], v[24:25], s[0:1], v[14:15]
	v_add_f64 v[12:13], v[84:85], v[32:33]
	v_fma_f64 v[24:25], v[36:37], s[0:1], v[18:19]
	;; [unrolled: 2-line block ×4, first 2 shown]
	v_fma_f64 v[22:23], v[40:41], s[4:5], v[22:23]
	v_fma_f64 v[124:125], v[128:129], s[0:1], v[34:35]
	;; [unrolled: 1-line block ×3, first 2 shown]
	v_add_f64 v[100:101], v[112:113], v[60:61]
	v_fma_f64 v[40:41], v[44:45], s[0:1], v[26:27]
	v_fma_f64 v[26:27], v[44:45], s[4:5], v[26:27]
	;; [unrolled: 1-line block ×3, first 2 shown]
	ds_write2_b64 v162, v[2:3], v[88:89] offset1:1
	v_add_f64 v[2:3], v[76:77], v[136:137]
	v_fma_f64 v[30:31], v[46:47], s[4:5], v[30:31]
	v_add_nc_u32_e32 v57, 0xbd0, v162
	v_add_nc_u32_e32 v56, 0x11b8, v162
	ds_write2_b64 v162, v[10:11], v[92:93] offset0:189 offset1:190
	ds_write2_b64 v162, v[0:1], v[4:5] offset0:2 offset1:191
	ds_write2_b64 v57, v[16:17], v[6:7] offset1:1
	v_add_nc_u32_e32 v0, 0xa00, v162
	v_add_nc_u32_e32 v61, 0x17a0, v162
	;; [unrolled: 1-line block ×4, first 2 shown]
	v_cmp_gt_u32_e64 s0, 21, v160
	v_add_nc_u32_e32 v60, 0x1d88, v56
	ds_write2_b64 v0, v[8:9], v[20:21] offset0:60 offset1:249
	ds_write2_b64 v56, v[28:29], v[14:15] offset1:1
	ds_write2_b64 v61, v[12:13], v[24:25] offset1:1
	ds_write2_b64 v1, v[18:19], v[32:33] offset0:54 offset1:241
	ds_write2_b64 v4, v[36:37], v[22:23] offset1:1
	v_add_nc_u32_e32 v0, 0x2378, v162
	v_add_nc_u32_e32 v1, 0x2960, v162
	ds_write_b64 v162, v[38:39] offset:9072
	ds_write2_b64 v0, v[40:41], v[26:27] offset1:1
	ds_write_b64 v162, v[2:3] offset:10584
	ds_write2_b64 v1, v[42:43], v[30:31] offset1:1
	s_and_saveexec_b32 s1, s0
	s_cbranch_execz .LBB0_17
; %bb.16:
	ds_write2_b64 v60, v[100:101], v[124:125] offset1:1
	ds_write_b64 v56, v[128:129] offset:7576
.LBB0_17:
	s_or_b32 exec_lo, exec_lo, s1
	v_lshl_add_u32 v161, v160, 3, 0
	s_waitcnt lgkmcnt(0)
	s_barrier
	buffer_gl0_inv
	v_add_nc_u32_e32 v8, 0x1000, v161
	v_add_nc_u32_e32 v9, 0x2000, v161
	;; [unrolled: 1-line block ×3, first 2 shown]
	ds_read2_b64 v[4:7], v161 offset1:63
	ds_read2_b64 v[0:3], v161 offset0:126 offset1:189
	ds_read2_b64 v[20:23], v8 offset0:13 offset1:76
	;; [unrolled: 1-line block ×4, first 2 shown]
	v_add_nc_u32_e32 v8, 0x400, v161
	v_add_nc_u32_e32 v33, 0x2800, v161
	v_add_nc_u32_e32 v10, 0x800, v161
	ds_read2_b64 v[28:31], v9 offset0:152 offset1:215
	ds_read2_b64 v[12:15], v8 offset0:124 offset1:187
	;; [unrolled: 1-line block ×7, first 2 shown]
	s_and_saveexec_b32 s1, s0
	s_cbranch_execz .LBB0_19
; %bb.18:
	ds_read_b64 v[100:101], v161 offset:4032
	ds_read_b64 v[124:125], v161 offset:8232
	;; [unrolled: 1-line block ×3, first 2 shown]
.LBB0_19:
	s_or_b32 exec_lo, exec_lo, s1
	v_add_f64 v[88:89], v[122:123], v[154:155]
	v_add_f64 v[92:93], v[118:119], v[150:151]
	;; [unrolled: 1-line block ×3, first 2 shown]
	v_add_f64 v[120:121], v[152:153], -v[120:121]
	v_add_f64 v[152:153], v[50:51], v[70:71]
	v_add_f64 v[136:137], v[154:155], v[142:143]
	;; [unrolled: 1-line block ×3, first 2 shown]
	v_add_f64 v[116:117], v[148:149], -v[116:117]
	v_add_f64 v[148:149], v[82:83], v[110:111]
	v_add_f64 v[48:49], v[68:69], -v[48:49]
	v_add_f64 v[68:69], v[78:79], v[98:99]
	v_add_f64 v[163:164], v[114:115], v[134:135]
	v_add_f64 v[52:53], v[144:145], -v[52:53]
	v_add_f64 v[144:145], v[74:75], v[106:107]
	v_add_f64 v[150:151], v[150:151], v[138:139]
	;; [unrolled: 1-line block ×3, first 2 shown]
	v_add_f64 v[64:65], v[64:65], -v[84:85]
	v_add_f64 v[84:85], v[110:111], v[102:103]
	v_add_f64 v[70:71], v[70:71], v[62:63]
	v_add_f64 v[66:67], v[66:67], v[58:59]
	v_add_f64 v[80:81], v[108:109], -v[80:81]
	v_add_f64 v[72:73], v[104:105], -v[72:73]
	v_fma_f64 v[88:89], v[88:89], -0.5, v[142:143]
	v_fma_f64 v[92:93], v[92:93], -0.5, v[138:139]
	;; [unrolled: 1-line block ×3, first 2 shown]
	v_add_f64 v[98:99], v[98:99], v[94:95]
	v_fma_f64 v[62:63], v[152:153], -0.5, v[62:63]
	v_add_f64 v[76:77], v[96:97], -v[76:77]
	v_fma_f64 v[58:59], v[154:155], -0.5, v[58:59]
	v_add_f64 v[96:97], v[134:135], v[126:127]
	v_fma_f64 v[102:103], v[148:149], -0.5, v[102:103]
	v_add_f64 v[104:105], v[132:133], -v[112:113]
	v_fma_f64 v[68:69], v[68:69], -0.5, v[94:95]
	v_fma_f64 v[94:95], v[163:164], -0.5, v[126:127]
	v_add_f64 v[106:107], v[106:107], v[90:91]
	v_fma_f64 v[90:91], v[144:145], -0.5, v[90:91]
	s_mov_b32 s4, 0xe8584caa
	s_mov_b32 s5, 0x3febb67a
	;; [unrolled: 1-line block ×4, first 2 shown]
	v_add_f64 v[108:109], v[122:123], v[136:137]
	v_add_f64 v[112:113], v[118:119], v[150:151]
	;; [unrolled: 1-line block ×4, first 2 shown]
	v_fma_f64 v[118:119], v[120:121], s[4:5], v[88:89]
	v_fma_f64 v[88:89], v[120:121], s[6:7], v[88:89]
	;; [unrolled: 1-line block ×8, first 2 shown]
	v_add_f64 v[62:63], v[86:87], v[66:67]
	v_fma_f64 v[66:67], v[64:65], s[4:5], v[58:59]
	v_fma_f64 v[58:59], v[64:65], s[6:7], v[58:59]
	v_add_f64 v[64:65], v[82:83], v[84:85]
	v_fma_f64 v[82:83], v[80:81], s[4:5], v[102:103]
	v_fma_f64 v[80:81], v[80:81], s[6:7], v[102:103]
	v_add_f64 v[78:79], v[78:79], v[98:99]
	v_add_f64 v[96:97], v[114:115], v[96:97]
	v_fma_f64 v[102:103], v[104:105], s[4:5], v[94:95]
	v_fma_f64 v[98:99], v[104:105], s[6:7], v[94:95]
	v_add_f64 v[74:75], v[74:75], v[106:107]
	v_fma_f64 v[84:85], v[72:73], s[4:5], v[90:91]
	v_fma_f64 v[86:87], v[76:77], s[4:5], v[68:69]
	;; [unrolled: 1-line block ×4, first 2 shown]
	v_add_nc_u32_e32 v76, 0xa00, v162
	s_waitcnt lgkmcnt(0)
	s_barrier
	buffer_gl0_inv
	ds_write2_b64 v162, v[108:109], v[118:119] offset1:1
	ds_write2_b64 v162, v[112:113], v[120:121] offset0:189 offset1:190
	ds_write2_b64 v162, v[88:89], v[92:93] offset0:2 offset1:191
	ds_write2_b64 v57, v[54:55], v[116:117] offset1:1
	ds_write2_b64 v56, v[50:51], v[70:71] offset1:1
	ds_write2_b64 v76, v[52:53], v[48:49] offset0:60 offset1:249
	ds_write2_b64 v61, v[62:63], v[66:67] offset1:1
	v_add_nc_u32_e32 v48, 0x1d88, v162
	v_add_nc_u32_e32 v49, 0x1600, v162
	;; [unrolled: 1-line block ×5, first 2 shown]
	ds_write2_b64 v48, v[64:65], v[82:83] offset1:1
	ds_write2_b64 v49, v[58:59], v[80:81] offset0:54 offset1:243
	ds_write2_b64 v50, v[74:75], v[84:85] offset1:1
	ds_write2_b64 v51, v[78:79], v[86:87] offset1:1
	ds_write2_b64 v52, v[72:73], v[68:69] offset0:48 offset1:237
	s_and_saveexec_b32 s1, s0
	s_cbranch_execz .LBB0_21
; %bb.20:
	ds_write2_b64 v60, v[96:97], v[102:103] offset1:1
	ds_write_b64 v56, v[98:99] offset:7576
.LBB0_21:
	s_or_b32 exec_lo, exec_lo, s1
	v_add_nc_u32_e32 v56, 0x1000, v161
	v_add_nc_u32_e32 v57, 0x2000, v161
	s_waitcnt lgkmcnt(0)
	s_barrier
	buffer_gl0_inv
	ds_read2_b64 v[52:55], v161 offset1:63
	ds_read2_b64 v[68:71], v56 offset0:13 offset1:76
	ds_read2_b64 v[72:75], v57 offset0:26 offset1:89
	;; [unrolled: 1-line block ×4, first 2 shown]
	v_add_nc_u32_e32 v56, 0x400, v161
	v_add_nc_u32_e32 v80, 0x1800, v161
	;; [unrolled: 1-line block ×4, first 2 shown]
	ds_read2_b64 v[76:79], v57 offset0:152 offset1:215
	ds_read2_b64 v[60:63], v56 offset0:124 offset1:187
	;; [unrolled: 1-line block ×7, first 2 shown]
	s_and_saveexec_b32 s1, s0
	s_cbranch_execz .LBB0_23
; %bb.22:
	ds_read_b64 v[96:97], v161 offset:4032
	ds_read_b64 v[102:103], v161 offset:8232
	;; [unrolled: 1-line block ×3, first 2 shown]
.LBB0_23:
	s_or_b32 exec_lo, exec_lo, s1
	v_add_nc_u32_e32 v164, 0xfc, v160
	v_mov_b32_e32 v104, 0xaaab
	v_and_b32_e32 v122, 0xff, v160
	v_add_nc_u32_e32 v162, 63, v160
	v_add_nc_u32_e32 v105, 0x13b, v160
	;; [unrolled: 1-line block ×3, first 2 shown]
	v_mul_u32_u24_sdwa v107, v164, v104 dst_sel:DWORD dst_unused:UNUSED_PAD src0_sel:WORD_0 src1_sel:DWORD
	v_add_nc_u32_e32 v109, 0x1b9, v160
	v_add_nc_u32_e32 v163, 0x7e, v160
	v_add_nc_u32_e32 v165, 0xbd, v160
	v_mul_lo_u16 v123, 0xab, v122
	v_and_b32_e32 v168, 0xff, v162
	v_add_nc_u32_e32 v143, 0x1f8, v160
	v_mul_u32_u24_sdwa v108, v105, v104 dst_sel:DWORD dst_unused:UNUSED_PAD src0_sel:WORD_0 src1_sel:DWORD
	v_mul_u32_u24_sdwa v110, v106, v104 dst_sel:DWORD dst_unused:UNUSED_PAD src0_sel:WORD_0 src1_sel:DWORD
	v_lshrrev_b32_e32 v126, 17, v107
	v_mul_u32_u24_sdwa v107, v109, v104 dst_sel:DWORD dst_unused:UNUSED_PAD src0_sel:WORD_0 src1_sel:DWORD
	v_and_b32_e32 v167, 0xff, v163
	v_and_b32_e32 v166, 0xff, v165
	v_lshrrev_b16 v206, 9, v123
	v_mul_lo_u16 v123, 0xab, v168
	v_mul_u32_u24_sdwa v104, v143, v104 dst_sel:DWORD dst_unused:UNUSED_PAD src0_sel:WORD_0 src1_sel:DWORD
	v_lshrrev_b32_e32 v127, 17, v108
	v_lshrrev_b32_e32 v130, 17, v110
	v_mul_lo_u16 v108, v126, 3
	v_lshrrev_b32_e32 v132, 17, v107
	v_mul_lo_u16 v145, 0xab, v167
	v_mul_lo_u16 v146, 0xab, v166
	;; [unrolled: 1-line block ×3, first 2 shown]
	v_lshrrev_b16 v207, 9, v123
	v_lshrrev_b32_e32 v104, 17, v104
	v_mul_lo_u16 v107, v130, 3
	v_sub_nc_u16 v133, v164, v108
	v_mul_lo_u16 v108, v132, 3
	v_mul_lo_u16 v110, v127, 3
	v_lshrrev_b16 v209, 9, v145
	v_lshrrev_b16 v210, 9, v146
	v_sub_nc_u16 v208, v160, v144
	v_mul_lo_u16 v123, v207, 3
	v_mul_lo_u16 v144, v104, 3
	v_mov_b32_e32 v131, 5
	v_sub_nc_u16 v155, v106, v107
	v_sub_nc_u16 v205, v109, v108
	v_sub_nc_u16 v105, v105, v110
	v_mul_lo_u16 v151, v209, 3
	v_mul_lo_u16 v152, v210, 3
	v_sub_nc_u16 v211, v162, v123
	v_sub_nc_u16 v123, v143, v144
	v_lshlrev_b32_sdwa v110, v131, v133 dst_sel:DWORD dst_unused:UNUSED_PAD src0_sel:DWORD src1_sel:WORD_0
	v_lshlrev_b32_sdwa v134, v131, v155 dst_sel:DWORD dst_unused:UNUSED_PAD src0_sel:DWORD src1_sel:WORD_0
	;; [unrolled: 1-line block ×3, first 2 shown]
	v_lshlrev_b32_sdwa v147, v131, v208 dst_sel:DWORD dst_unused:UNUSED_PAD src0_sel:DWORD src1_sel:BYTE_0
	v_lshlrev_b32_sdwa v118, v131, v105 dst_sel:DWORD dst_unused:UNUSED_PAD src0_sel:DWORD src1_sel:WORD_0
	v_sub_nc_u16 v212, v163, v151
	v_sub_nc_u16 v213, v165, v152
	v_lshlrev_b32_sdwa v177, v131, v123 dst_sel:DWORD dst_unused:UNUSED_PAD src0_sel:DWORD src1_sel:WORD_0
	s_clause 0x9
	global_load_dwordx4 v[106:109], v110, s[12:13]
	global_load_dwordx4 v[110:113], v110, s[12:13] offset:16
	global_load_dwordx4 v[114:117], v118, s[12:13]
	global_load_dwordx4 v[118:121], v118, s[12:13] offset:16
	global_load_dwordx4 v[135:138], v134, s[12:13]
	global_load_dwordx4 v[139:142], v169, s[12:13]
	;; [unrolled: 1-line block ×3, first 2 shown]
	global_load_dwordx4 v[147:150], v147, s[12:13] offset:16
	global_load_dwordx4 v[151:154], v134, s[12:13] offset:16
	;; [unrolled: 1-line block ×3, first 2 shown]
	v_lshlrev_b32_sdwa v134, v131, v211 dst_sel:DWORD dst_unused:UNUSED_PAD src0_sel:DWORD src1_sel:BYTE_0
	v_lshlrev_b32_sdwa v197, v131, v212 dst_sel:DWORD dst_unused:UNUSED_PAD src0_sel:DWORD src1_sel:BYTE_0
	;; [unrolled: 1-line block ×3, first 2 shown]
	s_clause 0x7
	global_load_dwordx4 v[173:176], v177, s[12:13]
	global_load_dwordx4 v[177:180], v177, s[12:13] offset:16
	global_load_dwordx4 v[181:184], v134, s[12:13]
	global_load_dwordx4 v[185:188], v134, s[12:13] offset:16
	global_load_dwordx4 v[189:192], v197, s[12:13]
	global_load_dwordx4 v[193:196], v131, s[12:13]
	global_load_dwordx4 v[197:200], v197, s[12:13] offset:16
	global_load_dwordx4 v[201:204], v131, s[12:13] offset:16
	v_mov_b32_e32 v131, 0x48
	v_mov_b32_e32 v134, 3
	v_mul_u32_u24_e32 v214, 0x48, v126
	v_mul_u32_u24_e32 v127, 0x48, v127
	;; [unrolled: 1-line block ×3, first 2 shown]
	v_mul_u32_u24_sdwa v206, v206, v131 dst_sel:DWORD dst_unused:UNUSED_PAD src0_sel:WORD_0 src1_sel:DWORD
	v_mul_lo_u16 v126, v104, 9
	v_mul_u32_u24_sdwa v239, v207, v131 dst_sel:DWORD dst_unused:UNUSED_PAD src0_sel:WORD_0 src1_sel:DWORD
	v_mul_u32_u24_sdwa v240, v209, v131 dst_sel:DWORD dst_unused:UNUSED_PAD src0_sel:WORD_0 src1_sel:DWORD
	;; [unrolled: 1-line block ×3, first 2 shown]
	v_lshlrev_b32_sdwa v104, v134, v208 dst_sel:DWORD dst_unused:UNUSED_PAD src0_sel:DWORD src1_sel:BYTE_0
	v_lshlrev_b32_sdwa v131, v134, v133 dst_sel:DWORD dst_unused:UNUSED_PAD src0_sel:DWORD src1_sel:WORD_0
	v_lshlrev_b32_sdwa v105, v134, v105 dst_sel:DWORD dst_unused:UNUSED_PAD src0_sel:DWORD src1_sel:WORD_0
	;; [unrolled: 1-line block ×3, first 2 shown]
	v_mul_u32_u24_e32 v130, 0x48, v130
	v_add3_u32 v133, 0, v206, v104
	v_add3_u32 v132, 0, v214, v131
	;; [unrolled: 1-line block ×4, first 2 shown]
	v_lshlrev_b32_sdwa v155, v134, v155 dst_sel:DWORD dst_unused:UNUSED_PAD src0_sel:DWORD src1_sel:WORD_0
	v_lshlrev_b32_sdwa v242, v134, v212 dst_sel:DWORD dst_unused:UNUSED_PAD src0_sel:DWORD src1_sel:BYTE_0
	v_lshlrev_b32_sdwa v243, v134, v213 dst_sel:DWORD dst_unused:UNUSED_PAD src0_sel:DWORD src1_sel:BYTE_0
	s_mov_b32 s4, 0xe8584caa
	s_mov_b32 s5, 0xbfebb67a
	v_add3_u32 v130, 0, v130, v155
	v_lshlrev_b32_sdwa v155, v134, v211 dst_sel:DWORD dst_unused:UNUSED_PAD src0_sel:DWORD src1_sel:BYTE_0
	s_mov_b32 s7, 0x3febb67a
	s_mov_b32 s6, s4
	s_waitcnt vmcnt(0) lgkmcnt(0)
	s_barrier
	buffer_gl0_inv
	v_mul_f64 v[104:105], v[92:93], v[108:109]
	v_mul_f64 v[108:109], v[44:45], v[108:109]
	;; [unrolled: 1-line block ×32, first 2 shown]
	v_fma_f64 v[104:105], v[44:45], v[106:107], v[104:105]
	v_fma_f64 v[92:93], v[92:93], v[106:107], -v[108:109]
	v_mul_f64 v[195:196], v[18:19], v[195:196]
	v_mul_f64 v[199:200], v[28:29], v[199:200]
	v_fma_f64 v[46:47], v[46:47], v[114:115], v[205:206]
	v_mul_f64 v[203:204], v[30:31], v[203:204]
	v_fma_f64 v[94:95], v[94:95], v[114:115], -v[116:117]
	v_fma_f64 v[106:107], v[40:41], v[110:111], v[207:208]
	v_fma_f64 v[44:45], v[88:89], v[110:111], -v[112:113]
	v_fma_f64 v[88:89], v[42:43], v[118:119], v[209:210]
	;; [unrolled: 2-line block ×5, first 2 shown]
	v_fma_f64 v[114:115], v[26:27], v[185:186], v[229:230]
	v_fma_f64 v[108:109], v[16:17], v[189:190], v[231:232]
	;; [unrolled: 1-line block ×9, first 2 shown]
	v_mul_f64 v[171:172], v[34:35], v[171:172]
	v_fma_f64 v[36:37], v[38:39], v[139:140], v[213:214]
	v_fma_f64 v[28:29], v[34:35], v[169:170], v[221:222]
	v_fma_f64 v[84:85], v[84:85], v[135:136], -v[137:138]
	v_fma_f64 v[22:23], v[86:87], v[139:140], -v[141:142]
	;; [unrolled: 1-line block ×10, first 2 shown]
	v_add_f64 v[74:75], v[116:117], v[120:121]
	v_fma_f64 v[64:65], v[78:79], v[201:202], -v[203:204]
	v_add_f64 v[76:77], v[104:105], v[106:107]
	v_add_f64 v[78:79], v[112:113], v[114:115]
	;; [unrolled: 1-line block ×8, first 2 shown]
	v_fma_f64 v[16:17], v[82:83], v[169:170], -v[171:172]
	v_add_f64 v[143:144], v[36:37], v[28:29]
	v_add_f64 v[82:83], v[4:5], v[116:117]
	v_add_f64 v[98:99], v[118:119], -v[20:21]
	v_add_f64 v[124:125], v[12:13], v[104:105]
	v_add_f64 v[145:146], v[8:9], v[42:43]
	;; [unrolled: 1-line block ×6, first 2 shown]
	v_add_f64 v[128:129], v[92:93], -v[44:45]
	v_add_f64 v[141:142], v[94:95], -v[40:41]
	v_fma_f64 v[4:5], v[74:75], -0.5, v[4:5]
	v_add_f64 v[74:75], v[80:81], -v[34:35]
	v_fma_f64 v[12:13], v[76:77], -0.5, v[12:13]
	v_fma_f64 v[6:7], v[78:79], -0.5, v[6:7]
	v_add_f64 v[76:77], v[70:71], -v[38:39]
	v_fma_f64 v[0:1], v[86:87], -0.5, v[0:1]
	v_add_f64 v[78:79], v[66:67], -v[64:65]
	;; [unrolled: 2-line block ×3, first 2 shown]
	v_fma_f64 v[14:15], v[135:136], -0.5, v[14:15]
	v_add_f64 v[135:136], v[137:138], v[88:89]
	v_fma_f64 v[137:138], v[147:148], -0.5, v[100:101]
	v_add_f64 v[149:150], v[84:85], -v[18:19]
	v_fma_f64 v[8:9], v[139:140], -0.5, v[8:9]
	v_add_f64 v[86:87], v[22:23], -v[16:17]
	v_fma_f64 v[10:11], v[143:144], -0.5, v[10:11]
	v_add_f64 v[82:83], v[82:83], v[120:121]
	v_add_f64 v[139:140], v[145:146], v[32:33]
	;; [unrolled: 1-line block ×6, first 2 shown]
	v_fma_f64 v[153:154], v[98:99], s[4:5], v[4:5]
	v_fma_f64 v[4:5], v[98:99], s[6:7], v[4:5]
	v_add_f64 v[124:125], v[124:125], v[106:107]
	v_fma_f64 v[169:170], v[74:75], s[4:5], v[6:7]
	v_fma_f64 v[6:7], v[74:75], s[6:7], v[6:7]
	;; [unrolled: 1-line block ×16, first 2 shown]
	v_add3_u32 v76, 0, v239, v155
	v_add3_u32 v75, 0, v240, v242
	;; [unrolled: 1-line block ×3, first 2 shown]
	ds_write2_b64 v133, v[82:83], v[153:154] offset1:3
	ds_write_b64 v133, v[4:5] offset:48
	ds_write2_b64 v76, v[145:146], v[169:170] offset1:3
	ds_write_b64 v76, v[6:7] offset:48
	;; [unrolled: 2-line block ×8, first 2 shown]
	s_and_saveexec_b32 s1, s0
	s_cbranch_execz .LBB0_25
; %bb.24:
	v_add_f64 v[4:5], v[100:101], v[30:31]
	v_lshlrev_b32_sdwa v6, v134, v123 dst_sel:DWORD dst_unused:UNUSED_PAD src0_sel:DWORD src1_sel:WORD_0
	v_lshlrev_b32_sdwa v7, v134, v126 dst_sel:DWORD dst_unused:UNUSED_PAD src0_sel:DWORD src1_sel:WORD_0
	v_add3_u32 v6, 0, v6, v7
	v_add_f64 v[4:5], v[4:5], v[68:69]
	ds_write2_b64 v6, v[4:5], v[0:1] offset1:3
	ds_write_b64 v6, v[2:3] offset:48
.LBB0_25:
	s_or_b32 exec_lo, exec_lo, s1
	v_add_f64 v[4:5], v[118:119], v[20:21]
	v_add_f64 v[6:7], v[80:81], v[34:35]
	;; [unrolled: 1-line block ×8, first 2 shown]
	v_add_f64 v[100:101], v[108:109], -v[110:111]
	v_add_f64 v[102:103], v[22:23], v[16:17]
	v_add_f64 v[108:109], v[24:25], v[26:27]
	;; [unrolled: 1-line block ×3, first 2 shown]
	v_add_f64 v[77:78], v[116:117], -v[120:121]
	v_add_f64 v[79:80], v[54:55], v[80:81]
	v_add_f64 v[86:87], v[112:113], -v[114:115]
	v_add_f64 v[70:71], v[48:49], v[70:71]
	v_add_f64 v[72:73], v[72:73], -v[90:91]
	v_add_f64 v[46:47], v[46:47], -v[88:89]
	;; [unrolled: 1-line block ×3, first 2 shown]
	v_add_f64 v[22:23], v[58:59], v[22:23]
	v_add_f64 v[28:29], v[36:37], -v[28:29]
	v_add_f64 v[30:31], v[30:31], -v[68:69]
	v_fma_f64 v[4:5], v[4:5], -0.5, v[52:53]
	v_add_f64 v[52:53], v[60:61], v[92:93]
	v_fma_f64 v[6:7], v[6:7], -0.5, v[54:55]
	v_add_f64 v[54:55], v[104:105], -v[106:107]
	v_fma_f64 v[8:9], v[8:9], -0.5, v[48:49]
	v_add_f64 v[48:49], v[62:63], v[94:95]
	v_fma_f64 v[10:11], v[10:11], -0.5, v[50:51]
	v_add_f64 v[50:51], v[56:57], v[84:85]
	v_fma_f64 v[12:13], v[12:13], -0.5, v[60:61]
	v_fma_f64 v[42:43], v[82:83], -0.5, v[62:63]
	;; [unrolled: 1-line block ×3, first 2 shown]
	v_add_f64 v[81:82], v[14:15], v[20:21]
	v_fma_f64 v[14:15], v[102:103], -0.5, v[58:59]
	v_fma_f64 v[20:21], v[108:109], -0.5, v[96:97]
	v_add_f64 v[83:84], v[66:67], v[64:65]
	v_add_nc_u32_e32 v64, 0x1000, v161
	v_add_nc_u32_e32 v63, 0x400, v161
	;; [unrolled: 1-line block ×10, first 2 shown]
	v_add_f64 v[79:80], v[79:80], v[34:35]
	v_add_f64 v[69:70], v[70:71], v[38:39]
	v_fma_f64 v[88:89], v[77:78], s[6:7], v[4:5]
	v_fma_f64 v[77:78], v[77:78], s[4:5], v[4:5]
	;; [unrolled: 1-line block ×8, first 2 shown]
	v_add_f64 v[100:101], v[52:53], v[44:45]
	v_fma_f64 v[102:103], v[54:55], s[6:7], v[12:13]
	v_fma_f64 v[107:108], v[54:55], s[4:5], v[12:13]
	v_add_f64 v[109:110], v[48:49], v[40:41]
	v_fma_f64 v[111:112], v[46:47], s[6:7], v[42:43]
	v_fma_f64 v[113:114], v[46:47], s[4:5], v[42:43]
	;; [unrolled: 3-line block ×4, first 2 shown]
	v_fma_f64 v[4:5], v[30:31], s[6:7], v[20:21]
	v_fma_f64 v[6:7], v[30:31], s[4:5], v[20:21]
	s_waitcnt lgkmcnt(0)
	s_barrier
	buffer_gl0_inv
	ds_read2_b64 v[12:15], v161 offset1:63
	ds_read2_b64 v[8:11], v63 offset0:124 offset1:187
	ds_read2_b64 v[56:59], v64 offset0:118 offset1:181
	;; [unrolled: 1-line block ×11, first 2 shown]
	ds_read_b64 v[60:61], v161 offset:12096
	s_waitcnt lgkmcnt(0)
	s_barrier
	buffer_gl0_inv
	ds_write2_b64 v133, v[81:82], v[88:89] offset1:3
	ds_write_b64 v133, v[77:78] offset:48
	ds_write2_b64 v76, v[79:80], v[90:91] offset1:3
	ds_write_b64 v76, v[85:86] offset:48
	;; [unrolled: 2-line block ×8, first 2 shown]
	s_and_saveexec_b32 s1, s0
	s_cbranch_execz .LBB0_27
; %bb.26:
	v_add_f64 v[24:25], v[96:97], v[24:25]
	v_add_f64 v[24:25], v[24:25], v[26:27]
	v_mov_b32_e32 v26, 3
	v_lshlrev_b32_sdwa v27, v26, v123 dst_sel:DWORD dst_unused:UNUSED_PAD src0_sel:DWORD src1_sel:WORD_0
	v_lshlrev_b32_sdwa v26, v26, v126 dst_sel:DWORD dst_unused:UNUSED_PAD src0_sel:DWORD src1_sel:WORD_0
	v_add3_u32 v26, 0, v27, v26
	ds_write2_b64 v26, v[24:25], v[4:5] offset1:3
	ds_write_b64 v26, v[6:7] offset:48
.LBB0_27:
	s_or_b32 exec_lo, exec_lo, s1
	v_mul_lo_u16 v24, v122, 57
	v_mul_lo_u16 v25, v168, 57
	v_mov_b32_e32 v70, 0xe38f
	s_waitcnt lgkmcnt(0)
	s_barrier
	v_lshrrev_b16 v92, 9, v24
	v_lshrrev_b16 v93, 9, v25
	v_mov_b32_e32 v25, 6
	buffer_gl0_inv
	s_mov_b32 s8, 0x134454ff
	v_mul_lo_u16 v24, v92, 9
	v_mul_lo_u16 v26, v93, 9
	s_mov_b32 s9, 0xbfee6f0e
	s_mov_b32 s15, 0x3fee6f0e
	;; [unrolled: 1-line block ×3, first 2 shown]
	v_sub_nc_u16 v98, v160, v24
	v_mul_lo_u16 v24, v167, 57
	v_sub_nc_u16 v99, v162, v26
	s_mov_b32 s6, 0x4755a5e
	s_mov_b32 s7, 0xbfe2cf23
	v_lshlrev_b32_sdwa v26, v25, v98 dst_sel:DWORD dst_unused:UNUSED_PAD src0_sel:DWORD src1_sel:BYTE_0
	v_lshrrev_b16 v123, 9, v24
	v_mul_lo_u16 v24, v166, 57
	v_lshlrev_b32_sdwa v27, v25, v99 dst_sel:DWORD dst_unused:UNUSED_PAD src0_sel:DWORD src1_sel:BYTE_0
	s_mov_b32 s17, 0x3fe2cf23
	s_clause 0x3
	global_load_dwordx4 v[76:79], v26, s[12:13] offset:112
	global_load_dwordx4 v[80:83], v26, s[12:13] offset:96
	;; [unrolled: 1-line block ×4, first 2 shown]
	v_lshrrev_b16 v124, 9, v24
	v_mul_u32_u24_sdwa v24, v164, v70 dst_sel:DWORD dst_unused:UNUSED_PAD src0_sel:WORD_0 src1_sel:DWORD
	v_mul_lo_u16 v69, v123, 9
	s_clause 0x1
	global_load_dwordx4 v[94:97], v26, s[12:13] offset:144
	global_load_dwordx4 v[100:103], v27, s[12:13] offset:96
	v_mul_lo_u16 v26, v124, 9
	v_lshrrev_b32_e32 v135, 19, v24
	v_sub_nc_u16 v125, v163, v69
	s_clause 0x1
	global_load_dwordx4 v[107:110], v27, s[12:13] offset:128
	global_load_dwordx4 v[111:114], v27, s[12:13] offset:144
	s_mov_b32 s16, s6
	v_sub_nc_u16 v134, v165, v26
	v_mul_lo_u16 v26, v135, 9
	v_lshlrev_b32_sdwa v69, v25, v125 dst_sel:DWORD dst_unused:UNUSED_PAD src0_sel:DWORD src1_sel:BYTE_0
	v_mul_u32_u24_e32 v253, 0x168, v135
	s_mov_b32 s4, 0x372fe950
	v_lshlrev_b32_sdwa v24, v25, v134 dst_sel:DWORD dst_unused:UNUSED_PAD src0_sel:DWORD src1_sel:BYTE_0
	v_sub_nc_u16 v251, v164, v26
	s_clause 0x6
	global_load_dwordx4 v[115:118], v69, s[12:13] offset:96
	global_load_dwordx4 v[119:122], v69, s[12:13] offset:112
	;; [unrolled: 1-line block ×7, first 2 shown]
	v_lshlrev_b32_sdwa v25, v25, v251 dst_sel:DWORD dst_unused:UNUSED_PAD src0_sel:DWORD src1_sel:WORD_0
	s_clause 0x4
	global_load_dwordx4 v[187:190], v24, s[12:13] offset:144
	global_load_dwordx4 v[191:194], v25, s[12:13] offset:96
	;; [unrolled: 1-line block ×5, first 2 shown]
	ds_read2_b64 v[72:75], v161 offset1:63
	ds_read2_b64 v[24:27], v63 offset0:124 offset1:187
	ds_read2_b64 v[130:133], v64 offset0:118 offset1:181
	;; [unrolled: 1-line block ×11, first 2 shown]
	ds_read_b64 v[235:236], v161 offset:12096
	v_mov_b32_e32 v63, 0x168
	v_mov_b32_e32 v67, 3
	s_mov_b32 s5, 0x3fd3c6ef
	s_waitcnt vmcnt(0) lgkmcnt(0)
	s_barrier
	v_mul_u32_u24_sdwa v92, v92, v63 dst_sel:DWORD dst_unused:UNUSED_PAD src0_sel:WORD_0 src1_sel:DWORD
	v_mul_u32_u24_sdwa v93, v93, v63 dst_sel:DWORD dst_unused:UNUSED_PAD src0_sel:WORD_0 src1_sel:DWORD
	v_lshlrev_b32_sdwa v98, v67, v98 dst_sel:DWORD dst_unused:UNUSED_PAD src0_sel:DWORD src1_sel:BYTE_0
	v_lshlrev_b32_sdwa v99, v67, v99 dst_sel:DWORD dst_unused:UNUSED_PAD src0_sel:DWORD src1_sel:BYTE_0
	;; [unrolled: 1-line block ×3, first 2 shown]
	v_mul_u32_u24_sdwa v252, v123, v63 dst_sel:DWORD dst_unused:UNUSED_PAD src0_sel:WORD_0 src1_sel:DWORD
	v_mul_u32_u24_sdwa v63, v124, v63 dst_sel:DWORD dst_unused:UNUSED_PAD src0_sel:WORD_0 src1_sel:DWORD
	v_add3_u32 v170, 0, v92, v98
	v_add3_u32 v169, 0, v93, v99
	v_lshlrev_b32_sdwa v254, v67, v125 dst_sel:DWORD dst_unused:UNUSED_PAD src0_sel:DWORD src1_sel:BYTE_0
	buffer_gl0_inv
	v_cmp_gt_u32_e64 s0, 36, v160
	v_mul_f64 v[92:93], v[130:131], v[78:79]
	v_mul_f64 v[78:79], v[56:57], v[78:79]
	;; [unrolled: 1-line block ×21, first 2 shown]
	v_fma_f64 v[144:145], v[56:57], v[76:77], v[92:93]
	v_fma_f64 v[98:99], v[130:131], v[76:77], -v[78:79]
	v_mul_f64 v[56:57], v[40:41], v[173:174]
	v_mul_f64 v[78:79], v[221:222], v[181:182]
	;; [unrolled: 1-line block ×6, first 2 shown]
	v_fma_f64 v[128:129], v[58:59], v[88:89], v[140:141]
	v_fma_f64 v[92:93], v[132:133], v[88:89], -v[90:91]
	v_mul_f64 v[88:89], v[50:51], v[181:182]
	v_mul_f64 v[181:182], v[225:226], v[189:190]
	;; [unrolled: 1-line block ×6, first 2 shown]
	v_fma_f64 v[152:153], v[22:23], v[84:85], v[134:135]
	v_fma_f64 v[90:91], v[209:210], v[84:85], -v[86:87]
	v_mul_f64 v[22:23], v[34:35], v[193:194]
	v_mul_f64 v[86:87], v[207:208], v[197:198]
	;; [unrolled: 1-line block ×3, first 2 shown]
	v_fma_f64 v[154:155], v[52:53], v[94:95], v[146:147]
	v_mul_f64 v[52:53], v[20:21], v[197:198]
	v_mul_f64 v[197:198], v[235:236], v[205:206]
	v_fma_f64 v[150:151], v[10:11], v[80:81], v[123:124]
	v_fma_f64 v[146:147], v[36:37], v[107:108], v[237:238]
	v_mul_f64 v[36:37], v[60:61], v[205:206]
	v_fma_f64 v[140:141], v[44:45], v[100:101], v[148:149]
	v_mul_f64 v[44:45], v[30:31], v[201:202]
	v_fma_f64 v[148:149], v[54:55], v[111:112], v[239:240]
	v_fma_f64 v[130:131], v[48:49], v[119:120], v[243:244]
	;; [unrolled: 1-line block ×3, first 2 shown]
	v_fma_f64 v[10:11], v[138:139], v[111:112], -v[113:114]
	v_fma_f64 v[132:133], v[46:47], v[115:116], v[241:242]
	v_fma_f64 v[138:139], v[40:41], v[171:172], v[249:250]
	v_fma_f64 v[84:85], v[136:137], v[94:95], -v[96:97]
	v_fma_f64 v[136:137], v[211:212], v[100:101], -v[102:103]
	;; [unrolled: 1-line block ×3, first 2 shown]
	v_fma_f64 v[120:121], v[50:51], v[179:180], v[78:79]
	v_fma_f64 v[122:123], v[28:29], v[183:184], v[173:174]
	v_fma_f64 v[142:143], v[26:27], v[80:81], -v[82:83]
	v_fma_f64 v[124:125], v[213:214], v[115:116], -v[117:118]
	;; [unrolled: 1-line block ×3, first 2 shown]
	v_fma_f64 v[118:119], v[32:33], v[175:176], v[76:77]
	v_fma_f64 v[126:127], v[42:43], v[187:188], v[181:182]
	v_fma_f64 v[94:95], v[215:216], v[107:108], -v[109:110]
	v_fma_f64 v[110:111], v[20:21], v[195:196], v[86:87]
	v_fma_f64 v[112:113], v[30:31], v[199:200], v[193:194]
	;; [unrolled: 1-line block ×4, first 2 shown]
	v_fma_f64 v[100:101], v[221:222], v[179:180], -v[88:89]
	v_fma_f64 v[88:89], v[229:230], v[191:192], -v[22:23]
	v_add_f64 v[20:21], v[12:13], v[150:151]
	v_add_f64 v[22:23], v[144:145], v[152:153]
	v_fma_f64 v[78:79], v[235:236], v[203:204], -v[36:37]
	v_add_f64 v[36:37], v[150:151], v[154:155]
	v_fma_f64 v[86:87], v[233:234], v[199:200], -v[44:45]
	v_add_f64 v[32:33], v[150:151], -v[144:145]
	v_add_f64 v[34:35], v[154:155], -v[152:153]
	;; [unrolled: 1-line block ×4, first 2 shown]
	v_add_f64 v[42:43], v[14:15], v[140:141]
	v_add_f64 v[44:45], v[128:129], v[146:147]
	;; [unrolled: 1-line block ×3, first 2 shown]
	v_fma_f64 v[26:27], v[223:224], v[171:172], -v[56:57]
	v_fma_f64 v[96:97], v[207:208], v[195:196], -v[52:53]
	v_add_f64 v[50:51], v[140:141], -v[128:129]
	v_add_f64 v[52:53], v[148:149], -v[146:147]
	v_add_f64 v[171:172], v[130:131], v[134:135]
	v_add_f64 v[181:182], v[132:133], v[138:139]
	v_fma_f64 v[116:117], v[227:228], v[175:176], -v[58:59]
	v_fma_f64 v[76:77], v[225:226], v[187:188], -v[185:186]
	v_add_f64 v[56:57], v[128:129], -v[140:141]
	v_add_f64 v[58:59], v[146:147], -v[148:149]
	v_add_f64 v[189:190], v[120:121], v[122:123]
	v_fma_f64 v[82:83], v[231:232], v[183:184], -v[177:178]
	v_add_f64 v[199:200], v[118:119], v[126:127]
	v_add_f64 v[177:178], v[132:133], -v[130:131]
	v_add_f64 v[179:180], v[138:139], -v[134:135]
	v_add_f64 v[207:208], v[110:111], v[112:113]
	v_add_f64 v[217:218], v[108:109], v[114:115]
	v_add_f64 v[28:29], v[142:143], -v[84:85]
	v_add_f64 v[183:184], v[130:131], -v[132:133]
	;; [unrolled: 1-line block ×3, first 2 shown]
	v_add_f64 v[20:21], v[20:21], v[144:145]
	v_fma_f64 v[22:23], v[22:23], -0.5, v[12:13]
	v_add_f64 v[30:31], v[98:99], -v[90:91]
	v_add_f64 v[187:188], v[18:19], v[118:119]
	v_fma_f64 v[12:13], v[36:37], -0.5, v[12:13]
	v_add_f64 v[46:47], v[136:137], -v[10:11]
	v_add_f64 v[32:33], v[32:33], v[34:35]
	v_add_f64 v[34:35], v[38:39], v[40:41]
	;; [unrolled: 1-line block ×3, first 2 shown]
	v_fma_f64 v[38:39], v[44:45], -0.5, v[14:15]
	v_add_f64 v[48:49], v[92:93], -v[94:95]
	v_add_f64 v[60:61], v[16:17], v[132:133]
	v_add_f64 v[195:196], v[118:119], -v[120:121]
	v_add_f64 v[197:198], v[126:127], -v[122:123]
	v_fma_f64 v[14:15], v[54:55], -0.5, v[14:15]
	v_add_f64 v[173:174], v[124:125], -v[26:27]
	v_add_f64 v[40:41], v[50:51], v[52:53]
	v_fma_f64 v[50:51], v[171:172], -0.5, v[16:17]
	v_add_f64 v[175:176], v[102:103], -v[80:81]
	v_fma_f64 v[16:17], v[181:182], -0.5, v[16:17]
	v_add_f64 v[191:192], v[116:117], -v[76:77]
	v_add_f64 v[201:202], v[120:121], -v[118:119]
	v_add_f64 v[203:204], v[122:123], -v[126:127]
	v_add_f64 v[42:43], v[56:57], v[58:59]
	v_fma_f64 v[58:59], v[189:190], -0.5, v[18:19]
	v_add_f64 v[193:194], v[100:101], -v[82:83]
	v_fma_f64 v[18:19], v[199:200], -0.5, v[18:19]
	v_add_f64 v[205:206], v[8:9], v[108:109]
	v_add_f64 v[209:210], v[88:89], -v[78:79]
	v_add_f64 v[52:53], v[177:178], v[179:180]
	v_fma_f64 v[179:180], v[207:208], -0.5, v[8:9]
	v_add_f64 v[211:212], v[96:97], -v[86:87]
	v_fma_f64 v[8:9], v[217:218], -0.5, v[8:9]
	v_add_f64 v[213:214], v[108:109], -v[110:111]
	v_add_f64 v[215:216], v[114:115], -v[112:113]
	v_add_f64 v[54:55], v[183:184], v[185:186]
	v_add_f64 v[20:21], v[20:21], v[152:153]
	v_fma_f64 v[185:186], v[28:29], s[8:9], v[22:23]
	v_add_f64 v[56:57], v[187:188], v[120:121]
	v_fma_f64 v[22:23], v[28:29], s[14:15], v[22:23]
	v_fma_f64 v[187:188], v[30:31], s[14:15], v[12:13]
	;; [unrolled: 1-line block ×3, first 2 shown]
	v_add_f64 v[36:37], v[36:37], v[146:147]
	v_fma_f64 v[189:190], v[46:47], s[8:9], v[38:39]
	v_add_f64 v[44:45], v[60:61], v[130:131]
	v_add_f64 v[60:61], v[195:196], v[197:198]
	v_fma_f64 v[38:39], v[46:47], s[14:15], v[38:39]
	v_fma_f64 v[195:196], v[48:49], s[14:15], v[14:15]
	;; [unrolled: 1-line block ×7, first 2 shown]
	v_add_f64 v[171:172], v[201:202], v[203:204]
	v_fma_f64 v[201:202], v[191:192], s[8:9], v[58:59]
	v_fma_f64 v[58:59], v[191:192], s[14:15], v[58:59]
	;; [unrolled: 1-line block ×4, first 2 shown]
	v_add_f64 v[177:178], v[205:206], v[110:111]
	v_fma_f64 v[205:206], v[209:210], s[8:9], v[179:180]
	v_add_f64 v[219:220], v[110:111], -v[108:109]
	v_add_f64 v[221:222], v[112:113], -v[114:115]
	v_fma_f64 v[207:208], v[211:212], s[14:15], v[8:9]
	v_fma_f64 v[8:9], v[211:212], s[8:9], v[8:9]
	;; [unrolled: 1-line block ×3, first 2 shown]
	v_add_f64 v[181:182], v[213:214], v[215:216]
	v_add_f64 v[213:214], v[20:21], v[154:155]
	v_fma_f64 v[20:21], v[30:31], s[6:7], v[185:186]
	v_fma_f64 v[22:23], v[30:31], s[16:17], v[22:23]
	v_fma_f64 v[30:31], v[28:29], s[6:7], v[187:188]
	v_fma_f64 v[12:13], v[28:29], s[16:17], v[12:13]
	v_add_f64 v[28:29], v[36:37], v[148:149]
	v_fma_f64 v[36:37], v[48:49], s[6:7], v[189:190]
	v_fma_f64 v[38:39], v[48:49], s[16:17], v[38:39]
	v_fma_f64 v[48:49], v[46:47], s[6:7], v[195:196]
	v_fma_f64 v[14:15], v[46:47], s[16:17], v[14:15]
	;; [unrolled: 5-line block ×4, first 2 shown]
	v_add_f64 v[177:178], v[177:178], v[112:113]
	v_fma_f64 v[187:188], v[211:212], s[6:7], v[205:206]
	v_add_f64 v[183:184], v[219:220], v[221:222]
	v_fma_f64 v[189:190], v[209:210], s[6:7], v[207:208]
	v_fma_f64 v[8:9], v[209:210], s[16:17], v[8:9]
	;; [unrolled: 1-line block ×11, first 2 shown]
	v_add_f64 v[44:45], v[44:45], v[138:139]
	v_fma_f64 v[46:47], v[52:53], s[4:5], v[46:47]
	v_fma_f64 v[48:49], v[52:53], s[4:5], v[50:51]
	v_fma_f64 v[50:51], v[54:55], s[4:5], v[175:176]
	v_fma_f64 v[52:53], v[54:55], s[4:5], v[16:17]
	v_add_f64 v[56:57], v[56:57], v[126:127]
	v_fma_f64 v[54:55], v[60:61], s[4:5], v[173:174]
	v_fma_f64 v[58:59], v[60:61], s[4:5], v[58:59]
	v_fma_f64 v[60:61], v[171:172], s[4:5], v[185:186]
	v_fma_f64 v[171:172], v[171:172], s[4:5], v[18:19]
	;; [unrolled: 5-line block ×3, first 2 shown]
	v_lshlrev_b32_sdwa v8, v67, v251 dst_sel:DWORD dst_unused:UNUSED_PAD src0_sel:DWORD src1_sel:WORD_0
	v_add3_u32 v17, 0, v252, v254
	v_add3_u32 v16, 0, v63, v255
	;; [unrolled: 1-line block ×3, first 2 shown]
	ds_write2_b64 v170, v[213:214], v[191:192] offset1:9
	ds_write2_b64 v170, v[30:31], v[34:35] offset0:18 offset1:27
	ds_write_b64 v170, v[32:33] offset:288
	ds_write2_b64 v169, v[28:29], v[36:37] offset1:9
	ds_write2_b64 v169, v[40:41], v[42:43] offset0:18 offset1:27
	ds_write_b64 v169, v[38:39] offset:288
	;; [unrolled: 3-line block ×5, first 2 shown]
	s_waitcnt lgkmcnt(0)
	s_barrier
	buffer_gl0_inv
	ds_read2_b64 v[32:35], v161 offset1:63
	ds_read2_b64 v[28:31], v161 offset0:126 offset1:225
	ds_read2_b64 v[60:63], v62 offset0:66 offset1:129
	;; [unrolled: 1-line block ×9, first 2 shown]
	ds_read_b64 v[106:107], v161 offset:11808
                                        ; implicit-def: $vgpr104_vgpr105
	s_and_saveexec_b32 s1, s0
	s_cbranch_execz .LBB0_29
; %bb.28:
	v_add_nc_u32_e32 v0, 0x500, v161
	v_add_nc_u32_e32 v1, 0x1380, v161
	;; [unrolled: 1-line block ×3, first 2 shown]
	ds_read2_b64 v[12:15], v0 offset0:29 offset1:254
	ds_read2_b64 v[20:23], v1 offset0:15 offset1:240
	;; [unrolled: 1-line block ×3, first 2 shown]
	ds_read_b64 v[104:105], v161 offset:12312
.LBB0_29:
	s_or_b32 exec_lo, exec_lo, s1
	v_add_f64 v[8:9], v[98:99], v[90:91]
	v_add_f64 v[171:172], v[72:73], v[142:143]
	v_add_f64 v[150:151], v[150:151], -v[154:155]
	v_add_f64 v[173:174], v[142:143], v[84:85]
	v_add_f64 v[179:180], v[92:93], v[94:95]
	;; [unrolled: 1-line block ×3, first 2 shown]
	v_add_f64 v[144:145], v[144:145], -v[152:153]
	v_add_f64 v[152:153], v[142:143], -v[98:99]
	;; [unrolled: 1-line block ×3, first 2 shown]
	v_add_f64 v[177:178], v[74:75], v[136:137]
	v_add_f64 v[187:188], v[102:103], v[80:81]
	;; [unrolled: 1-line block ×3, first 2 shown]
	v_add_f64 v[140:141], v[140:141], -v[148:149]
	v_add_f64 v[128:129], v[128:129], -v[146:147]
	;; [unrolled: 1-line block ×4, first 2 shown]
	v_add_f64 v[195:196], v[100:101], v[82:83]
	v_add_f64 v[197:198], v[116:117], v[76:77]
	v_add_f64 v[142:143], v[98:99], -v[142:143]
	v_add_f64 v[175:176], v[90:91], -v[84:85]
	v_add_f64 v[199:200], v[96:97], v[86:87]
	v_add_f64 v[110:111], v[110:111], -v[112:113]
	v_fma_f64 v[8:9], v[8:9], -0.5, v[72:73]
	v_add_f64 v[98:99], v[171:172], v[98:99]
	v_add_f64 v[112:113], v[88:89], v[78:79]
	v_fma_f64 v[72:73], v[173:174], -0.5, v[72:73]
	v_fma_f64 v[173:174], v[179:180], -0.5, v[74:75]
	v_fma_f64 v[74:75], v[181:182], -0.5, v[74:75]
	v_add_f64 v[136:137], v[92:93], -v[136:137]
	v_add_f64 v[185:186], v[68:69], v[124:125]
	v_add_f64 v[132:133], v[132:133], -v[138:139]
	v_add_f64 v[108:109], v[108:109], -v[114:115]
	v_add_f64 v[92:93], v[177:178], v[92:93]
	v_add_f64 v[114:115], v[152:153], v[154:155]
	v_fma_f64 v[152:153], v[187:188], -0.5, v[68:69]
	v_add_f64 v[130:131], v[130:131], -v[134:135]
	v_fma_f64 v[68:69], v[189:190], -0.5, v[68:69]
	v_add_f64 v[193:194], v[70:71], v[116:117]
	v_add_f64 v[118:119], v[118:119], -v[126:127]
	v_add_f64 v[179:180], v[24:25], v[88:89]
	v_add_f64 v[146:147], v[146:147], v[148:149]
	v_fma_f64 v[148:149], v[195:196], -0.5, v[70:71]
	v_add_f64 v[183:184], v[94:95], -v[10:11]
	v_add_f64 v[120:121], v[120:121], -v[122:123]
	v_fma_f64 v[181:182], v[150:151], s[14:15], v[8:9]
	v_fma_f64 v[8:9], v[150:151], s[8:9], v[8:9]
	v_fma_f64 v[70:71], v[197:198], -0.5, v[70:71]
	v_add_f64 v[142:143], v[142:143], v[175:176]
	v_fma_f64 v[154:155], v[199:200], -0.5, v[24:25]
	v_add_f64 v[90:91], v[98:99], v[90:91]
	v_fma_f64 v[98:99], v[144:145], s[8:9], v[72:73]
	v_fma_f64 v[175:176], v[140:141], s[14:15], v[173:174]
	;; [unrolled: 1-line block ×5, first 2 shown]
	v_fma_f64 v[24:25], v[112:113], -0.5, v[24:25]
	v_fma_f64 v[74:75], v[128:129], s[14:15], v[74:75]
	v_add_f64 v[134:135], v[124:125], -v[102:103]
	v_add_f64 v[138:139], v[26:27], -v[80:81]
	v_add_f64 v[124:125], v[102:103], -v[124:125]
	v_add_f64 v[102:103], v[185:186], v[102:103]
	v_add_f64 v[92:93], v[92:93], v[94:95]
	v_fma_f64 v[94:95], v[132:133], s[14:15], v[152:153]
	v_add_f64 v[191:192], v[80:81], -v[26:27]
	v_fma_f64 v[112:113], v[132:133], s[8:9], v[152:153]
	v_fma_f64 v[152:153], v[130:131], s[8:9], v[68:69]
	;; [unrolled: 1-line block ×5, first 2 shown]
	v_add_f64 v[122:123], v[116:117], -v[100:101]
	v_add_f64 v[126:127], v[76:77], -v[82:83]
	;; [unrolled: 1-line block ×3, first 2 shown]
	v_add_f64 v[100:101], v[193:194], v[100:101]
	v_add_f64 v[144:145], v[179:180], v[96:97]
	v_fma_f64 v[179:180], v[118:119], s[14:15], v[148:149]
	v_add_f64 v[171:172], v[82:83], -v[76:77]
	v_add_f64 v[136:137], v[136:137], v[183:184]
	v_fma_f64 v[148:149], v[118:119], s[8:9], v[148:149]
	v_fma_f64 v[183:184], v[120:121], s[8:9], v[70:71]
	;; [unrolled: 1-line block ×4, first 2 shown]
	v_add_f64 v[84:85], v[90:91], v[84:85]
	v_fma_f64 v[90:91], v[150:151], s[16:17], v[98:99]
	v_fma_f64 v[98:99], v[128:129], s[16:17], v[175:176]
	;; [unrolled: 1-line block ×3, first 2 shown]
	v_add_f64 v[175:176], v[78:79], -v[86:87]
	v_fma_f64 v[72:73], v[150:151], s[6:7], v[72:73]
	v_fma_f64 v[150:151], v[140:141], s[16:17], v[177:178]
	;; [unrolled: 1-line block ×4, first 2 shown]
	v_add_f64 v[8:9], v[88:89], -v[96:97]
	v_fma_f64 v[177:178], v[110:111], s[8:9], v[24:25]
	v_add_f64 v[88:89], v[96:97], -v[88:89]
	v_add_f64 v[96:97], v[86:87], -v[78:79]
	v_fma_f64 v[24:25], v[110:111], s[14:15], v[24:25]
	v_fma_f64 v[154:155], v[108:109], s[8:9], v[154:155]
	;; [unrolled: 1-line block ×3, first 2 shown]
	v_add_f64 v[80:81], v[102:103], v[80:81]
	v_fma_f64 v[94:95], v[130:131], s[16:17], v[94:95]
	v_add_f64 v[102:103], v[134:135], v[138:139]
	v_fma_f64 v[112:113], v[130:131], s[6:7], v[112:113]
	v_fma_f64 v[130:131], v[132:133], s[16:17], v[152:153]
	v_add_f64 v[124:125], v[124:125], v[191:192]
	v_fma_f64 v[68:69], v[132:133], s[6:7], v[68:69]
	v_add_f64 v[82:83], v[100:101], v[82:83]
	;; [unrolled: 2-line block ×3, first 2 shown]
	v_fma_f64 v[120:121], v[120:121], s[6:7], v[148:149]
	v_fma_f64 v[126:127], v[118:119], s[16:17], v[183:184]
	v_add_f64 v[116:117], v[116:117], v[171:172]
	v_fma_f64 v[70:71], v[118:119], s[6:7], v[70:71]
	v_add_f64 v[86:87], v[144:145], v[86:87]
	;; [unrolled: 2-line block ×4, first 2 shown]
	v_fma_f64 v[24:25], v[108:109], s[6:7], v[24:25]
	v_fma_f64 v[96:97], v[110:111], s[6:7], v[154:155]
	v_fma_f64 v[90:91], v[142:143], s[4:5], v[90:91]
	v_fma_f64 v[72:73], v[142:143], s[4:5], v[72:73]
	v_add_f64 v[92:93], v[92:93], v[10:11]
	v_fma_f64 v[98:99], v[146:147], s[4:5], v[98:99]
	v_fma_f64 v[110:111], v[136:137], s[4:5], v[150:151]
	v_fma_f64 v[74:75], v[136:137], s[4:5], v[74:75]
	v_fma_f64 v[108:109], v[146:147], s[4:5], v[128:129]
	v_add_f64 v[26:27], v[80:81], v[26:27]
	;; [unrolled: 5-line block ×4, first 2 shown]
	v_fma_f64 v[8:9], v[132:133], s[4:5], v[118:119]
	v_fma_f64 v[10:11], v[88:89], s[4:5], v[134:135]
	;; [unrolled: 1-line block ×4, first 2 shown]
	s_waitcnt lgkmcnt(0)
	s_barrier
	buffer_gl0_inv
	ds_write2_b64 v170, v[84:85], v[173:174] offset1:9
	ds_write2_b64 v170, v[90:91], v[72:73] offset0:18 offset1:27
	ds_write_b64 v170, v[114:115] offset:288
	ds_write2_b64 v169, v[92:93], v[98:99] offset1:9
	ds_write2_b64 v169, v[110:111], v[74:75] offset0:18 offset1:27
	ds_write_b64 v169, v[108:109] offset:288
	ds_write2_b64 v17, v[26:27], v[80:81] offset1:9
	ds_write2_b64 v17, v[102:103], v[112:113] offset0:18 offset1:27
	ds_write_b64 v17, v[94:95] offset:288
	ds_write2_b64 v16, v[76:77], v[82:83] offset1:9
	ds_write2_b64 v16, v[120:121], v[116:117] offset0:18 offset1:27
	ds_write_b64 v16, v[100:101] offset:288
	ds_write2_b64 v18, v[78:79], v[8:9] offset1:9
	ds_write2_b64 v18, v[10:11], v[68:69] offset0:18 offset1:27
	ds_write_b64 v18, v[70:71] offset:288
	v_add_nc_u32_e32 v76, 0x1800, v161
	v_add_nc_u32_e32 v84, 0x2000, v161
	;; [unrolled: 1-line block ×7, first 2 shown]
	s_waitcnt lgkmcnt(0)
	s_barrier
	buffer_gl0_inv
	ds_read2_b64 v[24:27], v161 offset1:63
	ds_read2_b64 v[16:19], v161 offset0:126 offset1:225
	ds_read2_b64 v[80:83], v72 offset0:66 offset1:129
	;; [unrolled: 1-line block ×9, first 2 shown]
	ds_read_b64 v[110:111], v161 offset:11808
                                        ; implicit-def: $vgpr108_vgpr109
	s_and_saveexec_b32 s1, s0
	s_cbranch_execz .LBB0_31
; %bb.30:
	v_add_nc_u32_e32 v4, 0x500, v161
	v_add_nc_u32_e32 v5, 0x1380, v161
	;; [unrolled: 1-line block ×3, first 2 shown]
	ds_read2_b64 v[8:11], v4 offset0:29 offset1:254
	ds_read2_b64 v[68:71], v5 offset0:15 offset1:240
	;; [unrolled: 1-line block ×3, first 2 shown]
	ds_read_b64 v[108:109], v161 offset:12312
.LBB0_31:
	s_or_b32 exec_lo, exec_lo, s1
	v_mul_lo_u16 v112, 0x6d, v168
	v_mul_lo_u16 v115, 0x6d, v167
	v_subrev_nc_u32_e32 v113, 45, v160
	v_cmp_gt_u32_e64 s1, 45, v160
	v_mul_lo_u16 v120, 0x6d, v166
	v_lshrrev_b16 v114, 8, v112
	v_lshrrev_b16 v130, 8, v115
	s_mov_b32 s14, 0x37e14327
	v_cndmask_b32_e64 v155, v113, v160, s1
	v_mov_b32_e32 v113, 0
	v_sub_nc_u16 v116, v162, v114
	v_lshrrev_b16 v139, 8, v120
	s_mov_b32 s22, 0xe976ee23
	v_mul_i32_i24_e32 v112, 6, v155
	s_mov_b32 s6, 0x429ad128
	v_lshrrev_b16 v115, 1, v116
	v_sub_nc_u16 v116, v163, v130
	v_sub_nc_u16 v140, v165, v139
	v_lshlrev_b64 v[112:113], 4, v[112:113]
	s_mov_b32 s15, 0x3fe948f6
	v_and_b32_e32 v115, 0x7f, v115
	v_lshrrev_b16 v116, 1, v116
	s_mov_b32 s4, 0x36b3c0b5
	s_mov_b32 s23, 0x3fe11646
	v_add_co_u32 v124, s1, s12, v112
	v_and_b32_e32 v131, 0x7f, v116
	v_add_nc_u16 v126, v115, v114
	v_add_co_ci_u32_e64 v125, s1, s13, v113, s1
	s_mov_b32 s7, 0xbfebfeb5
	v_add_nc_u16 v134, v131, v130
	v_lshrrev_b16 v234, 5, v126
	s_clause 0x5
	global_load_dwordx4 v[112:115], v[124:125], off offset:672
	global_load_dwordx4 v[116:119], v[124:125], off offset:688
	;; [unrolled: 1-line block ×6, first 2 shown]
	v_lshrrev_b16 v235, 5, v134
	v_mul_lo_u16 v141, v234, 45
	v_mov_b32_e32 v124, 6
	v_lshrrev_b16 v125, 1, v140
	s_mov_b32 s5, 0x3fac98ee
	v_mul_lo_u16 v134, v235, 45
	v_sub_nc_u16 v236, v162, v141
	s_mov_b32 s8, 0xaaaaaaaa
	v_and_b32_e32 v125, 0x7f, v125
	s_mov_b32 s24, 0xb247c609
	v_sub_nc_u16 v134, v163, v134
	v_mul_u32_u24_sdwa v140, v236, v124 dst_sel:DWORD dst_unused:UNUSED_PAD src0_sel:BYTE_0 src1_sel:DWORD
	s_mov_b32 s9, 0xbff2aaaa
	v_add_nc_u16 v125, v125, v139
	s_mov_b32 s16, 0x5476071b
	v_mul_u32_u24_sdwa v124, v134, v124 dst_sel:DWORD dst_unused:UNUSED_PAD src0_sel:BYTE_0 src1_sel:DWORD
	v_lshlrev_b32_e32 v186, 4, v140
	s_mov_b32 s25, 0xbfd5d0dc
	v_lshrrev_b16 v125, 5, v125
	s_mov_b32 s27, 0x3fd5d0dc
	v_lshlrev_b32_e32 v124, 4, v124
	s_clause 0xb
	global_load_dwordx4 v[139:142], v186, s[12:13] offset:688
	global_load_dwordx4 v[143:146], v186, s[12:13] offset:752
	;; [unrolled: 1-line block ×12, first 2 shown]
	v_mul_lo_u16 v125, v125, 45
	s_mov_b32 s26, s24
	s_mov_b32 s17, 0x3fe77f67
	;; [unrolled: 1-line block ×4, first 2 shown]
	v_sub_nc_u16 v125, v165, v125
	s_mov_b32 s18, 0x37c3f68c
	s_mov_b32 s19, 0xbfdc38aa
	v_cmp_lt_u32_e64 s1, 44, v160
	v_mov_b32_e32 v239, 3
	v_and_b32_e32 v237, 0xff, v125
	v_lshlrev_b32_e32 v155, 3, v155
	v_cndmask_b32_e64 v238, 0, 0x9d8, s1
	v_lshlrev_b32_sdwa v236, v239, v236 dst_sel:DWORD dst_unused:UNUSED_PAD src0_sel:DWORD src1_sel:BYTE_0
	v_mul_u32_u24_e32 v125, 6, v237
	v_lshlrev_b32_e32 v124, 4, v125
	s_clause 0x5
	global_load_dwordx4 v[198:201], v124, s[12:13] offset:672
	global_load_dwordx4 v[202:205], v124, s[12:13] offset:688
	;; [unrolled: 1-line block ×6, first 2 shown]
	s_waitcnt vmcnt(0) lgkmcnt(0)
	s_barrier
	buffer_gl0_inv
	v_mul_f64 v[124:125], v[18:19], v[114:115]
	v_mul_f64 v[114:115], v[30:31], v[114:115]
	;; [unrolled: 1-line block ×12, first 2 shown]
	v_mov_b32_e32 v122, 0x9d8
	v_mul_u32_u24_sdwa v234, v234, v122 dst_sel:DWORD dst_unused:UNUSED_PAD src0_sel:WORD_0 src1_sel:DWORD
	v_mul_u32_u24_sdwa v235, v235, v122 dst_sel:DWORD dst_unused:UNUSED_PAD src0_sel:WORD_0 src1_sel:DWORD
	v_fma_f64 v[30:31], v[30:31], v[112:113], v[124:125]
	v_fma_f64 v[122:123], v[18:19], v[112:113], -v[114:115]
	v_fma_f64 v[18:19], v[60:61], v[116:117], v[222:223]
	v_fma_f64 v[124:125], v[80:81], v[116:117], -v[118:119]
	v_fma_f64 v[80:81], v[50:51], v[120:121], v[224:225]
	v_mul_f64 v[50:51], v[82:83], v[141:142]
	v_fma_f64 v[38:39], v[38:39], v[130:131], v[230:231]
	v_fma_f64 v[130:131], v[78:79], v[130:131], -v[132:133]
	v_mul_f64 v[60:61], v[102:103], v[145:146]
	v_fma_f64 v[78:79], v[64:65], v[135:136], v[232:233]
	v_mul_f64 v[64:65], v[92:93], v[149:150]
	v_mul_f64 v[114:115], v[84:85], v[153:154]
	v_fma_f64 v[74:75], v[74:75], v[120:121], -v[226:227]
	v_fma_f64 v[44:45], v[44:45], v[126:127], v[228:229]
	v_fma_f64 v[96:97], v[96:97], v[126:127], -v[128:129]
	v_fma_f64 v[132:133], v[100:101], v[135:136], -v[137:138]
	v_mul_f64 v[120:121], v[94:95], v[168:169]
	v_mul_f64 v[126:127], v[56:57], v[149:150]
	;; [unrolled: 1-line block ×12, first 2 shown]
	v_fma_f64 v[100:101], v[62:63], v[139:140], v[50:51]
	v_mul_f64 v[62:63], v[42:43], v[192:193]
	v_fma_f64 v[112:113], v[66:67], v[143:144], v[60:61]
	v_mul_f64 v[145:146], v[66:67], v[145:146]
	v_fma_f64 v[116:117], v[56:57], v[147:148], v[64:65]
	v_fma_f64 v[118:119], v[52:53], v[151:152], v[114:115]
	v_mul_f64 v[50:51], v[90:91], v[192:193]
	v_mul_f64 v[60:61], v[76:77], v[196:197]
	;; [unrolled: 1-line block ×4, first 2 shown]
	v_fma_f64 v[114:115], v[58:59], v[166:167], v[120:121]
	v_mul_f64 v[56:57], v[106:107], v[180:181]
	v_mul_f64 v[168:169], v[58:59], v[168:169]
	v_fma_f64 v[48:49], v[48:49], v[170:171], v[128:129]
	v_fma_f64 v[120:121], v[106:107], v[178:179], v[141:142]
	;; [unrolled: 1-line block ×3, first 2 shown]
	v_add_f64 v[54:55], v[30:31], v[78:79]
	v_add_f64 v[64:65], v[18:19], v[38:39]
	v_fma_f64 v[128:129], v[92:93], v[147:148], -v[126:127]
	v_fma_f64 v[126:127], v[82:83], v[139:140], -v[135:136]
	v_fma_f64 v[40:41], v[40:41], v[174:175], v[137:138]
	v_fma_f64 v[82:83], v[88:89], v[174:175], -v[176:177]
	v_fma_f64 v[46:47], v[46:47], v[186:187], v[222:223]
	v_fma_f64 v[88:89], v[98:99], v[186:187], -v[188:189]
	v_fma_f64 v[98:99], v[84:85], v[151:152], -v[153:154]
	;; [unrolled: 1-line block ×4, first 2 shown]
	v_add_f64 v[62:63], v[116:117], v[112:113]
	v_add_f64 v[72:73], v[100:101], v[118:119]
	v_fma_f64 v[102:103], v[102:103], v[143:144], -v[145:146]
	v_fma_f64 v[42:43], v[42:43], v[190:191], v[50:51]
	v_fma_f64 v[86:87], v[86:87], v[182:183], -v[52:53]
	v_fma_f64 v[36:37], v[36:37], v[194:195], v[60:61]
	v_fma_f64 v[76:77], v[76:77], v[194:195], -v[66:67]
	v_fma_f64 v[90:91], v[110:111], v[178:179], -v[56:57]
	;; [unrolled: 1-line block ×3, first 2 shown]
	v_add_f64 v[52:53], v[114:115], v[120:121]
	v_add_f64 v[56:57], v[48:49], v[106:107]
	v_mul_f64 v[58:59], v[10:11], v[200:201]
	v_add_f64 v[60:61], v[80:81], v[44:45]
	v_add_f64 v[110:111], v[124:125], -v[130:131]
	v_add_f64 v[135:136], v[96:97], -v[74:75]
	v_add_f64 v[137:138], v[122:123], -v[132:133]
	v_add_f64 v[147:148], v[64:65], v[54:55]
	v_add_f64 v[149:150], v[40:41], v[46:47]
	v_add_f64 v[153:154], v[88:89], -v[82:83]
	v_add_f64 v[151:152], v[126:127], -v[98:99]
	v_mul_f64 v[66:67], v[14:15], v[200:201]
	v_mul_f64 v[139:140], v[68:69], v[204:205]
	;; [unrolled: 1-line block ×3, first 2 shown]
	v_add_f64 v[170:171], v[72:73], v[62:63]
	v_add_f64 v[168:169], v[128:129], -v[102:103]
	v_mul_f64 v[143:144], v[70:71], v[208:209]
	v_add_f64 v[172:173], v[92:93], -v[86:87]
	v_add_f64 v[174:175], v[42:43], v[36:37]
	v_add_f64 v[176:177], v[76:77], -v[84:85]
	v_mul_f64 v[145:146], v[22:23], v[208:209]
	v_add_f64 v[180:181], v[94:95], -v[90:91]
	v_mul_f64 v[186:187], v[6:7], v[216:217]
	v_add_f64 v[182:183], v[56:57], v[52:53]
	v_fma_f64 v[50:51], v[14:15], v[198:199], v[58:59]
	v_add_f64 v[184:185], v[54:55], -v[60:61]
	v_add_f64 v[188:189], v[60:61], -v[64:65]
	;; [unrolled: 1-line block ×4, first 2 shown]
	v_add_f64 v[14:15], v[60:61], v[147:148]
	v_add_f64 v[58:59], v[62:63], -v[149:150]
	v_add_f64 v[60:61], v[149:150], -v[72:73]
	;; [unrolled: 1-line block ×3, first 2 shown]
	v_add_f64 v[110:111], v[135:136], v[110:111]
	v_add_f64 v[54:55], v[64:65], -v[54:55]
	v_mul_f64 v[194:195], v[2:3], v[216:217]
	v_add_f64 v[149:150], v[149:150], v[170:171]
	v_add_f64 v[204:205], v[151:152], -v[168:169]
	v_add_f64 v[135:136], v[137:138], -v[135:136]
	v_mul_f64 v[166:167], v[4:5], v[212:213]
	v_add_f64 v[64:65], v[52:53], -v[174:175]
	v_add_f64 v[170:171], v[176:177], -v[172:173]
	v_mul_f64 v[178:179], v[0:1], v[212:213]
	v_add_f64 v[208:209], v[172:173], -v[180:181]
	v_add_f64 v[62:63], v[72:73], -v[62:63]
	v_add_f64 v[182:183], v[174:175], v[182:183]
	v_add_f64 v[174:175], v[174:175], -v[56:57]
	v_mul_f64 v[184:185], v[184:185], s[14:15]
	v_mul_f64 v[212:213], v[188:189], s[4:5]
	;; [unrolled: 1-line block ×4, first 2 shown]
	v_add_f64 v[32:33], v[32:33], v[14:15]
	v_add_f64 v[72:73], v[153:154], v[151:152]
	v_add_f64 v[151:152], v[168:169], -v[153:154]
	v_add_f64 v[153:154], v[176:177], v[172:173]
	v_mul_f64 v[58:59], v[58:59], s[14:15]
	v_mul_f64 v[172:173], v[60:61], s[4:5]
	;; [unrolled: 1-line block ×3, first 2 shown]
	v_add_f64 v[34:35], v[34:35], v[149:150]
	v_add_f64 v[110:111], v[110:111], v[137:138]
	v_mul_f64 v[137:138], v[204:205], s[6:7]
	v_add_f64 v[176:177], v[180:181], -v[176:177]
	v_mul_f64 v[64:65], v[64:65], s[14:15]
	v_mul_f64 v[170:171], v[170:171], s[22:23]
	;; [unrolled: 1-line block ×4, first 2 shown]
	v_add_f64 v[52:53], v[56:57], -v[52:53]
	v_add_f64 v[28:29], v[28:29], v[182:183]
	v_mul_f64 v[56:57], v[208:209], s[6:7]
	v_mul_f64 v[220:221], v[174:175], s[4:5]
	v_fma_f64 v[188:189], v[188:189], s[4:5], v[184:185]
	v_fma_f64 v[222:223], v[135:136], s[24:25], v[190:191]
	v_fma_f64 v[190:191], v[192:193], s[6:7], -v[190:191]
	v_fma_f64 v[135:136], v[135:136], s[26:27], -v[216:217]
	v_fma_f64 v[14:15], v[14:15], s[8:9], v[32:33]
	v_fma_f64 v[212:213], v[54:55], s[16:17], -v[212:213]
	v_fma_f64 v[184:185], v[54:55], s[20:21], -v[184:185]
	v_add_f64 v[72:73], v[72:73], v[168:169]
	v_fma_f64 v[60:61], v[60:61], s[4:5], v[58:59]
	v_fma_f64 v[168:169], v[62:63], s[16:17], -v[172:173]
	v_fma_f64 v[172:173], v[151:152], s[24:25], v[147:148]
	v_fma_f64 v[149:150], v[149:150], s[8:9], v[34:35]
	v_fma_f64 v[147:148], v[204:205], s[6:7], -v[147:148]
	v_fma_f64 v[137:138], v[151:152], s[26:27], -v[137:138]
	;; [unrolled: 1-line block ×3, first 2 shown]
	v_add_f64 v[153:154], v[153:154], v[180:181]
	v_fma_f64 v[151:152], v[174:175], s[4:5], v[64:65]
	v_fma_f64 v[174:175], v[176:177], s[24:25], v[170:171]
	v_fma_f64 v[170:171], v[208:209], s[6:7], -v[170:171]
	v_fma_f64 v[180:181], v[182:183], s[8:9], v[28:29]
	v_fma_f64 v[176:177], v[176:177], s[26:27], -v[56:57]
	v_fma_f64 v[64:65], v[52:53], s[20:21], -v[64:65]
	;; [unrolled: 1-line block ×4, first 2 shown]
	v_fma_f64 v[52:53], v[20:21], v[202:203], v[139:140]
	v_fma_f64 v[54:55], v[22:23], v[206:207], v[143:144]
	;; [unrolled: 1-line block ×5, first 2 shown]
	v_add_f64 v[110:111], v[188:189], v[14:15]
	v_add_f64 v[135:136], v[184:185], v[14:15]
	;; [unrolled: 1-line block ×3, first 2 shown]
	v_fma_f64 v[139:140], v[72:73], s[18:19], v[172:173]
	v_add_f64 v[143:144], v[60:61], v[149:150]
	v_fma_f64 v[58:59], v[68:69], v[202:203], -v[141:142]
	v_fma_f64 v[141:142], v[72:73], s[18:19], v[147:148]
	v_fma_f64 v[137:138], v[72:73], s[18:19], v[137:138]
	v_add_f64 v[147:148], v[62:63], v[149:150]
	v_add_f64 v[149:150], v[168:169], v[149:150]
	v_fma_f64 v[168:169], v[153:154], s[18:19], v[174:175]
	v_fma_f64 v[170:171], v[153:154], s[18:19], v[170:171]
	v_add_f64 v[151:152], v[151:152], v[180:181]
	v_fma_f64 v[153:154], v[153:154], s[18:19], v[176:177]
	v_add_f64 v[172:173], v[64:65], v[180:181]
	v_add_f64 v[174:175], v[182:183], v[180:181]
	v_fma_f64 v[62:63], v[70:71], v[206:207], -v[145:146]
	v_fma_f64 v[60:61], v[0:1], v[210:211], v[166:167]
	v_fma_f64 v[64:65], v[4:5], v[210:211], -v[178:179]
	v_fma_f64 v[66:67], v[2:3], v[214:215], v[186:187]
	;; [unrolled: 2-line block ×3, first 2 shown]
	v_fma_f64 v[72:73], v[108:109], v[218:219], -v[200:201]
	v_add_f64 v[0:1], v[10:11], v[110:111]
	v_add_f64 v[2:3], v[22:23], v[135:136]
	v_add_f64 v[4:5], v[14:15], -v[20:21]
	v_add_f64 v[6:7], v[20:21], v[14:15]
	v_add_f64 v[14:15], v[135:136], -v[22:23]
	v_add_f64 v[10:11], v[110:111], -v[10:11]
	v_add_f64 v[20:21], v[139:140], v[143:144]
	v_add_f64 v[22:23], v[137:138], v[147:148]
	v_add_f64 v[110:111], v[149:150], -v[141:142]
	v_add_f64 v[135:136], v[141:142], v[149:150]
	v_add_f64 v[137:138], v[147:148], -v[137:138]
	v_add_f64 v[139:140], v[143:144], -v[139:140]
	;; [unrolled: 6-line block ×3, first 2 shown]
	v_lshlrev_b32_sdwa v104, v239, v134 dst_sel:DWORD dst_unused:UNUSED_PAD src0_sel:DWORD src1_sel:BYTE_0
	v_add3_u32 v109, 0, v238, v155
	v_add3_u32 v108, 0, v234, v236
	;; [unrolled: 1-line block ×3, first 2 shown]
	v_lshl_add_u32 v104, v237, 3, 0
	ds_write2_b64 v109, v[32:33], v[0:1] offset1:45
	ds_write2_b64 v109, v[2:3], v[4:5] offset0:90 offset1:135
	ds_write2_b64 v109, v[6:7], v[14:15] offset0:180 offset1:225
	ds_write_b64 v109, v[10:11] offset:2160
	ds_write2_b64 v108, v[34:35], v[20:21] offset1:45
	ds_write2_b64 v108, v[22:23], v[110:111] offset0:90 offset1:135
	ds_write2_b64 v108, v[135:136], v[137:138] offset0:180 offset1:225
	ds_write_b64 v108, v[139:140] offset:2160
	;; [unrolled: 4-line block ×3, first 2 shown]
	s_and_saveexec_b32 s1, s0
	s_cbranch_execz .LBB0_33
; %bb.32:
	v_add_f64 v[0:1], v[52:53], v[66:67]
	v_add_f64 v[2:3], v[50:51], v[68:69]
	v_add_f64 v[4:5], v[64:65], -v[62:63]
	v_add_f64 v[6:7], v[58:59], -v[70:71]
	v_add_f64 v[10:11], v[54:55], v[60:61]
	v_add_f64 v[14:15], v[56:57], -v[72:73]
	v_add_f64 v[20:21], v[0:1], v[2:3]
	v_add_f64 v[22:23], v[4:5], -v[6:7]
	v_add_f64 v[28:29], v[2:3], -v[10:11]
	v_add_f64 v[32:33], v[6:7], -v[14:15]
	v_add_f64 v[6:7], v[4:5], v[6:7]
	v_add_f64 v[4:5], v[14:15], -v[4:5]
	v_add_f64 v[20:21], v[10:11], v[20:21]
	v_add_f64 v[10:11], v[10:11], -v[0:1]
	v_add_f64 v[0:1], v[0:1], -v[2:3]
	v_mul_f64 v[2:3], v[22:23], s[22:23]
	v_mul_f64 v[22:23], v[28:29], s[14:15]
	;; [unrolled: 1-line block ×3, first 2 shown]
	v_add_f64 v[6:7], v[6:7], v[14:15]
	v_add_f64 v[12:13], v[12:13], v[20:21]
	v_mul_f64 v[34:35], v[10:11], s[4:5]
	v_fma_f64 v[14:15], v[4:5], s[24:25], v[2:3]
	v_fma_f64 v[10:11], v[10:11], s[4:5], v[22:23]
	v_fma_f64 v[110:111], v[0:1], s[20:21], -v[22:23]
	v_fma_f64 v[4:5], v[4:5], s[26:27], -v[28:29]
	;; [unrolled: 1-line block ×3, first 2 shown]
	v_fma_f64 v[20:21], v[20:21], s[8:9], v[12:13]
	v_fma_f64 v[0:1], v[0:1], s[16:17], -v[34:35]
	v_fma_f64 v[14:15], v[6:7], s[18:19], v[14:15]
	v_fma_f64 v[4:5], v[6:7], s[18:19], v[4:5]
	;; [unrolled: 1-line block ×3, first 2 shown]
	v_add_f64 v[10:11], v[10:11], v[20:21]
	v_add_f64 v[6:7], v[110:111], v[20:21]
	;; [unrolled: 1-line block ×4, first 2 shown]
	v_add_f64 v[20:21], v[6:7], -v[4:5]
	v_add_f64 v[22:23], v[0:1], -v[2:3]
	v_add_f64 v[4:5], v[4:5], v[6:7]
	v_add_f64 v[0:1], v[2:3], v[0:1]
	v_add_f64 v[2:3], v[10:11], -v[14:15]
	v_add_nc_u32_e32 v6, 0x2400, v104
	v_add_nc_u32_e32 v7, 0x2800, v104
	ds_write2_b64 v6, v[12:13], v[28:29] offset0:108 offset1:153
	ds_write2_b64 v7, v[4:5], v[22:23] offset0:70 offset1:115
	;; [unrolled: 1-line block ×3, first 2 shown]
	ds_write_b64 v104, v[2:3] offset:12240
.LBB0_33:
	s_or_b32 exec_lo, exec_lo, s1
	v_add_f64 v[10:11], v[122:123], v[132:133]
	v_add_f64 v[12:13], v[124:125], v[130:131]
	;; [unrolled: 1-line block ×6, first 2 shown]
	v_add_f64 v[30:31], v[30:31], -v[78:79]
	v_add_f64 v[18:19], v[18:19], -v[38:39]
	v_add_f64 v[32:33], v[74:75], v[96:97]
	v_add_f64 v[34:35], v[44:45], -v[80:81]
	v_add_f64 v[38:39], v[116:117], -v[112:113]
	v_add_f64 v[44:45], v[100:101], -v[118:119]
	v_add_f64 v[74:75], v[82:83], v[88:89]
	v_add_f64 v[40:41], v[46:47], -v[40:41]
	v_add_f64 v[46:47], v[114:115], -v[120:121]
	v_add_f64 v[48:49], v[48:49], -v[106:107]
	v_add_f64 v[76:77], v[84:85], v[76:77]
	v_add_f64 v[36:37], v[36:37], -v[42:43]
	v_add_nc_u32_e32 v110, 0x400, v161
	v_add_nc_u32_e32 v111, 0x1000, v161
	;; [unrolled: 1-line block ×5, first 2 shown]
	v_add_f64 v[78:79], v[12:13], v[10:11]
	v_add_nc_u32_e32 v124, 0x2800, v161
	v_add_f64 v[42:43], v[20:21], v[14:15]
	s_waitcnt lgkmcnt(0)
	v_add_f64 v[80:81], v[28:29], v[22:23]
	s_barrier
	v_add_f64 v[88:89], v[18:19], -v[30:31]
	v_add_f64 v[82:83], v[10:11], -v[32:33]
	;; [unrolled: 1-line block ×8, first 2 shown]
	v_add_f64 v[18:19], v[34:35], v[18:19]
	v_add_f64 v[96:97], v[48:49], -v[46:47]
	v_add_f64 v[94:95], v[36:37], -v[48:49]
	v_add_f64 v[44:45], v[40:41], v[44:45]
	v_add_f64 v[34:35], v[30:31], -v[34:35]
	v_add_f64 v[48:49], v[36:37], v[48:49]
	v_add_f64 v[40:41], v[38:39], -v[40:41]
	buffer_gl0_inv
	v_add_f64 v[32:33], v[32:33], v[78:79]
	v_add_f64 v[78:79], v[14:15], -v[74:75]
	v_add_f64 v[42:43], v[74:75], v[42:43]
	v_add_f64 v[74:75], v[22:23], -v[76:77]
	;; [unrolled: 2-line block ×3, first 2 shown]
	v_add_f64 v[14:15], v[20:21], -v[14:15]
	v_mul_f64 v[82:83], v[82:83], s[14:15]
	v_mul_f64 v[98:99], v[84:85], s[4:5]
	;; [unrolled: 1-line block ×4, first 2 shown]
	v_add_f64 v[22:23], v[28:29], -v[22:23]
	v_mul_f64 v[92:93], v[92:93], s[22:23]
	v_mul_f64 v[28:29], v[12:13], s[6:7]
	v_add_f64 v[18:19], v[18:19], v[30:31]
	v_mul_f64 v[30:31], v[96:97], s[6:7]
	ds_read2_b64 v[0:3], v161 offset1:63
	v_add_nc_u32_e32 v115, 0x1c00, v161
	ds_read2_b64 v[4:7], v161 offset0:126 offset1:189
	v_add_nc_u32_e32 v116, 0x1400, v161
	v_add_nc_u32_e32 v125, 0xc00, v161
	;; [unrolled: 1-line block ×3, first 2 shown]
	v_add_f64 v[100:101], v[24:25], v[32:33]
	v_mul_f64 v[24:25], v[78:79], s[14:15]
	v_mul_f64 v[78:79], v[90:91], s[4:5]
	v_add_f64 v[102:103], v[26:27], v[42:43]
	v_add_f64 v[26:27], v[46:47], -v[36:37]
	v_mul_f64 v[36:37], v[74:75], s[14:15]
	v_mul_f64 v[74:75], v[94:95], s[22:23]
	v_add_f64 v[94:95], v[16:17], v[80:81]
	v_add_f64 v[16:17], v[44:45], v[38:39]
	v_mul_f64 v[38:39], v[76:77], s[4:5]
	v_add_f64 v[44:45], v[48:49], v[46:47]
	v_fma_f64 v[46:47], v[84:85], s[4:5], v[82:83]
	v_fma_f64 v[84:85], v[34:35], s[24:25], v[20:21]
	v_fma_f64 v[48:49], v[10:11], s[16:17], -v[98:99]
	v_fma_f64 v[10:11], v[10:11], s[20:21], -v[82:83]
	;; [unrolled: 1-line block ×4, first 2 shown]
	v_fma_f64 v[88:89], v[40:41], s[24:25], v[92:93]
	v_fma_f64 v[12:13], v[12:13], s[6:7], -v[92:93]
	v_fma_f64 v[28:29], v[40:41], s[26:27], -v[28:29]
	ds_read_b64 v[82:83], v161 offset:12096
	v_fma_f64 v[32:33], v[32:33], s[8:9], v[100:101]
	v_fma_f64 v[86:87], v[90:91], s[4:5], v[24:25]
	v_fma_f64 v[78:79], v[14:15], s[16:17], -v[78:79]
	v_fma_f64 v[40:41], v[42:43], s[8:9], v[102:103]
	v_fma_f64 v[14:15], v[14:15], s[20:21], -v[24:25]
	v_fma_f64 v[24:25], v[76:77], s[4:5], v[36:37]
	v_fma_f64 v[42:43], v[26:27], s[24:25], v[74:75]
	v_fma_f64 v[74:75], v[96:97], s[6:7], -v[74:75]
	v_fma_f64 v[26:27], v[26:27], s[26:27], -v[30:31]
	v_fma_f64 v[30:31], v[80:81], s[8:9], v[94:95]
	v_fma_f64 v[36:37], v[22:23], s[20:21], -v[36:37]
	v_fma_f64 v[22:23], v[22:23], s[16:17], -v[38:39]
	v_fma_f64 v[38:39], v[18:19], s[18:19], v[84:85]
	v_fma_f64 v[76:77], v[18:19], s[18:19], v[20:21]
	;; [unrolled: 1-line block ×6, first 2 shown]
	v_add_f64 v[46:47], v[46:47], v[32:33]
	v_add_f64 v[84:85], v[10:11], v[32:33]
	;; [unrolled: 1-line block ×6, first 2 shown]
	v_fma_f64 v[42:43], v[44:45], s[18:19], v[42:43]
	v_fma_f64 v[74:75], v[44:45], s[18:19], v[74:75]
	;; [unrolled: 1-line block ×3, first 2 shown]
	v_add_f64 v[78:79], v[24:25], v[30:31]
	v_add_f64 v[98:99], v[36:37], v[30:31]
	;; [unrolled: 1-line block ×3, first 2 shown]
	ds_read2_b64 v[10:13], v110 offset0:124 offset1:187
	ds_read2_b64 v[18:21], v111 offset0:118 offset1:181
	;; [unrolled: 1-line block ×7, first 2 shown]
	v_add_f64 v[110:111], v[46:47], -v[38:39]
	v_add_f64 v[112:113], v[84:85], -v[80:81]
	v_add_f64 v[114:115], v[76:77], v[48:49]
	v_add_f64 v[76:77], v[48:49], -v[76:77]
	v_add_f64 v[80:81], v[80:81], v[84:85]
	v_add_f64 v[84:85], v[38:39], v[46:47]
	v_add_f64 v[116:117], v[86:87], -v[88:89]
	v_add_f64 v[118:119], v[96:97], -v[92:93]
	v_add_f64 v[120:121], v[90:91], v[40:41]
	v_add_f64 v[90:91], v[40:41], -v[90:91]
	v_add_f64 v[92:93], v[92:93], v[96:97]
	v_add_f64 v[86:87], v[88:89], v[86:87]
	v_add_f64 v[88:89], v[78:79], -v[42:43]
	v_add_f64 v[96:97], v[98:99], -v[44:45]
	v_add_f64 v[98:99], v[44:45], v[98:99]
	v_add_f64 v[78:79], v[42:43], v[78:79]
	ds_read2_b64 v[38:41], v124 offset0:106 offset1:169
	ds_read2_b64 v[42:45], v125 offset0:120 offset1:183
	;; [unrolled: 1-line block ×3, first 2 shown]
	v_add_f64 v[122:123], v[74:75], v[106:107]
	v_add_f64 v[74:75], v[106:107], -v[74:75]
	s_waitcnt lgkmcnt(0)
	s_barrier
	buffer_gl0_inv
	ds_write2_b64 v109, v[100:101], v[110:111] offset1:45
	ds_write2_b64 v109, v[112:113], v[114:115] offset0:90 offset1:135
	ds_write2_b64 v109, v[76:77], v[80:81] offset0:180 offset1:225
	ds_write_b64 v109, v[84:85] offset:2160
	ds_write2_b64 v108, v[102:103], v[116:117] offset1:45
	ds_write2_b64 v108, v[118:119], v[120:121] offset0:90 offset1:135
	ds_write2_b64 v108, v[90:91], v[92:93] offset0:180 offset1:225
	ds_write_b64 v108, v[86:87] offset:2160
	ds_write2_b64 v105, v[94:95], v[88:89] offset1:45
	ds_write2_b64 v105, v[96:97], v[122:123] offset0:90 offset1:135
	ds_write2_b64 v105, v[74:75], v[98:99] offset0:180 offset1:225
	ds_write_b64 v105, v[78:79] offset:2160
	s_and_saveexec_b32 s1, s0
	s_cbranch_execz .LBB0_35
; %bb.34:
	v_add_f64 v[56:57], v[56:57], v[72:73]
	v_add_f64 v[58:59], v[58:59], v[70:71]
	;; [unrolled: 1-line block ×3, first 2 shown]
	v_add_f64 v[52:53], v[52:53], -v[66:67]
	v_add_f64 v[54:55], v[60:61], -v[54:55]
	;; [unrolled: 1-line block ×3, first 2 shown]
	s_mov_b32 s4, 0x37e14327
	s_mov_b32 s5, 0x3fe948f6
	;; [unrolled: 1-line block ×10, first 2 shown]
	v_add_f64 v[60:61], v[58:59], v[56:57]
	v_add_f64 v[64:65], v[56:57], -v[62:63]
	v_add_f64 v[66:67], v[62:63], -v[58:59]
	;; [unrolled: 1-line block ×5, first 2 shown]
	v_add_f64 v[52:53], v[54:55], v[52:53]
	v_add_f64 v[54:55], v[50:51], -v[54:55]
	v_add_f64 v[60:61], v[62:63], v[60:61]
	v_mul_f64 v[58:59], v[64:65], s[4:5]
	s_mov_b32 s4, 0x429ad128
	v_mul_f64 v[62:63], v[66:67], s[6:7]
	v_mul_f64 v[64:65], v[68:69], s[8:9]
	s_mov_b32 s5, 0xbfebfeb5
	s_mov_b32 s8, 0xaaaaaaaa
	v_mul_f64 v[68:69], v[70:71], s[4:5]
	s_mov_b32 s9, 0xbff2aaaa
	v_add_f64 v[50:51], v[52:53], v[50:51]
	v_add_f64 v[8:9], v[8:9], v[60:61]
	v_fma_f64 v[52:53], v[66:67], s[6:7], v[58:59]
	v_fma_f64 v[62:63], v[56:57], s[14:15], -v[62:63]
	s_mov_b32 s15, 0xbfe77f67
	v_fma_f64 v[66:67], v[54:55], s[16:17], v[64:65]
	s_mov_b32 s17, 0x3fd5d0dc
	v_fma_f64 v[64:65], v[70:71], s[4:5], -v[64:65]
	v_fma_f64 v[54:55], v[54:55], s[16:17], -v[68:69]
	;; [unrolled: 1-line block ×3, first 2 shown]
	s_mov_b32 s4, 0x37c3f68c
	s_mov_b32 s5, 0xbfdc38aa
	v_fma_f64 v[60:61], v[60:61], s[8:9], v[8:9]
	v_fma_f64 v[58:59], v[50:51], s[4:5], v[66:67]
	;; [unrolled: 1-line block ×4, first 2 shown]
	v_add_f64 v[52:53], v[52:53], v[60:61]
	v_add_f64 v[54:55], v[56:57], v[60:61]
	v_add_f64 v[56:57], v[62:63], v[60:61]
	v_add_f64 v[60:61], v[52:53], -v[58:59]
	v_add_f64 v[62:63], v[54:55], -v[50:51]
	v_add_f64 v[66:67], v[64:65], v[56:57]
	v_add_f64 v[56:57], v[56:57], -v[64:65]
	v_add_f64 v[50:51], v[50:51], v[54:55]
	v_add_f64 v[52:53], v[58:59], v[52:53]
	v_add_nc_u32_e32 v54, 0x2400, v104
	v_add_nc_u32_e32 v55, 0x2800, v104
	ds_write2_b64 v54, v[8:9], v[60:61] offset0:108 offset1:153
	ds_write2_b64 v55, v[62:63], v[66:67] offset0:70 offset1:115
	;; [unrolled: 1-line block ×3, first 2 shown]
	ds_write_b64 v104, v[52:53] offset:12240
.LBB0_35:
	s_or_b32 exec_lo, exec_lo, s1
	s_waitcnt lgkmcnt(0)
	s_barrier
	buffer_gl0_inv
	s_and_saveexec_b32 s0, vcc_lo
	s_cbranch_execz .LBB0_37
; %bb.36:
	v_lshlrev_b32_e32 v8, 2, v164
	v_mov_b32_e32 v9, 0
	v_add_nc_u32_e32 v140, 0x1800, v161
	v_add_nc_u32_e32 v144, 0x2000, v161
	;; [unrolled: 1-line block ×4, first 2 shown]
	v_lshlrev_b64 v[50:51], 4, v[8:9]
	v_lshlrev_b32_e32 v8, 2, v165
	v_add_nc_u32_e32 v165, 0x2800, v161
	v_add_nc_u32_e32 v169, 0x800, v161
	;; [unrolled: 1-line block ×4, first 2 shown]
	v_add_co_u32 v52, vcc_lo, s12, v50
	v_add_co_ci_u32_e32 v53, vcc_lo, s13, v51, vcc_lo
	v_lshlrev_b64 v[50:51], 4, v[8:9]
	v_add_co_u32 v58, vcc_lo, 0x1380, v52
	v_add_co_ci_u32_e32 v59, vcc_lo, 0, v53, vcc_lo
	v_add_co_u32 v52, vcc_lo, 0x1000, v52
	v_add_co_ci_u32_e32 v53, vcc_lo, 0, v53, vcc_lo
	v_add_co_u32 v62, vcc_lo, s12, v50
	v_lshlrev_b32_e32 v8, 2, v163
	v_add_co_ci_u32_e32 v63, vcc_lo, s13, v51, vcc_lo
	v_add_co_u32 v60, vcc_lo, 0x1000, v62
	v_lshlrev_b64 v[84:85], 4, v[8:9]
	v_add_co_ci_u32_e32 v61, vcc_lo, 0, v63, vcc_lo
	v_add_co_u32 v70, vcc_lo, 0x1380, v62
	v_add_co_ci_u32_e32 v71, vcc_lo, 0, v63, vcc_lo
	v_add_co_u32 v86, vcc_lo, s12, v84
	v_lshlrev_b32_e32 v8, 2, v162
	v_add_co_ci_u32_e32 v87, vcc_lo, s13, v85, vcc_lo
	v_add_co_u32 v96, vcc_lo, 0x1380, v86
	v_lshlrev_b64 v[84:85], 4, v[8:9]
	v_add_co_ci_u32_e32 v97, vcc_lo, 0, v87, vcc_lo
	v_add_co_u32 v86, vcc_lo, 0x1000, v86
	v_add_co_ci_u32_e32 v87, vcc_lo, 0, v87, vcc_lo
	v_add_co_u32 v92, vcc_lo, s12, v84
	v_lshlrev_b32_e32 v8, 2, v160
	v_add_co_ci_u32_e32 v93, vcc_lo, s13, v85, vcc_lo
	s_clause 0x7
	global_load_dwordx4 v[50:53], v[52:53], off offset:896
	global_load_dwordx4 v[54:57], v[58:59], off offset:48
	;; [unrolled: 1-line block ×8, first 2 shown]
	v_add_co_u32 v100, vcc_lo, 0x1000, v92
	v_lshlrev_b64 v[108:109], 4, v[8:9]
	v_add_co_ci_u32_e32 v101, vcc_lo, 0, v93, vcc_lo
	v_add_co_u32 v112, vcc_lo, 0x1380, v92
	v_add_co_ci_u32_e32 v113, vcc_lo, 0, v93, vcc_lo
	v_add_co_u32 v8, vcc_lo, s12, v108
	v_add_co_ci_u32_e32 v116, vcc_lo, s13, v109, vcc_lo
	s_clause 0x1
	global_load_dwordx4 v[84:87], v[86:87], off offset:896
	global_load_dwordx4 v[88:91], v[96:97], off offset:48
	v_add_co_u32 v128, vcc_lo, 0x1380, v8
	v_add_co_ci_u32_e32 v129, vcc_lo, 0, v116, vcc_lo
	v_add_co_u32 v120, vcc_lo, 0x1000, v8
	v_add_co_ci_u32_e32 v121, vcc_lo, 0, v116, vcc_lo
	s_clause 0x9
	global_load_dwordx4 v[92:95], v[96:97], off offset:32
	global_load_dwordx4 v[96:99], v[96:97], off offset:16
	;; [unrolled: 1-line block ×10, first 2 shown]
	v_mul_hi_u32 v162, 0xa01a01a1, v160
	ds_read_b64 v[185:186], v161 offset:12096
	v_add_nc_u32_e32 v163, 0x1400, v161
	ds_read2_b64 v[132:135], v161 offset0:126 offset1:189
	v_add_nc_u32_e32 v181, 0x2400, v161
	ds_read2_b64 v[136:139], v161 offset1:63
	ds_read2_b64 v[140:143], v140 offset0:114 offset1:177
	v_mul_lo_u32 v8, s3, v158
	v_sub_nc_u32_e32 v145, v160, v162
	v_mul_lo_u32 v173, s2, v159
	v_mad_u64_u32 v[158:159], null, s2, v158, 0
	s_mov_b32 s6, 0x134454ff
	v_lshrrev_b32_e32 v161, 1, v145
	ds_read2_b64 v[144:147], v144 offset0:110 offset1:173
	ds_read2_b64 v[148:151], v148 offset0:120 offset1:183
	;; [unrolled: 1-line block ×3, first 2 shown]
	s_mov_b32 s7, 0x3fee6f0e
	s_mov_b32 s9, 0xbfee6f0e
	v_add_nc_u32_e32 v175, v161, v162
	ds_read2_b64 v[161:164], v163 offset0:116 offset1:179
	ds_read2_b64 v[165:168], v165 offset0:106 offset1:169
	;; [unrolled: 1-line block ×3, first 2 shown]
	v_add3_u32 v159, v159, v173, v8
	s_mov_b32 s8, s6
	s_mov_b32 s2, 0x4755a5e
	v_lshrrev_b32_e32 v8, 8, v175
	ds_read2_b64 v[173:176], v174 offset0:112 offset1:175
	ds_read2_b64 v[177:180], v177 offset0:118 offset1:181
	;; [unrolled: 1-line block ×3, first 2 shown]
	s_mov_b32 s3, 0xbfe2cf23
	s_mov_b32 s5, 0x3fe2cf23
	;; [unrolled: 1-line block ×3, first 2 shown]
	v_add_nc_u32_e32 v249, 63, v160
	s_mov_b32 s0, 0x372fe950
	s_mov_b32 s1, 0x3fd3c6ef
	v_lshlrev_b64 v[158:159], 4, v[158:159]
	v_mul_u32_u24_e32 v8, 0x13b, v8
	v_sub_nc_u32_e32 v8, v160, v8
	v_lshlrev_b32_e32 v8, 4, v8
	s_waitcnt vmcnt(19)
	v_mul_f64 v[189:190], v[44:45], v[52:53]
	s_waitcnt vmcnt(17)
	v_mul_f64 v[191:192], v[48:49], v[76:77]
	;; [unrolled: 2-line block ×3, first 2 shown]
	v_mul_f64 v[193:194], v[82:83], v[56:57]
	s_waitcnt lgkmcnt(9)
	v_mul_f64 v[80:81], v[140:141], v[80:81]
	s_waitcnt lgkmcnt(8)
	;; [unrolled: 2-line block ×3, first 2 shown]
	v_mul_f64 v[52:53], v[150:151], v[52:53]
	v_mul_f64 v[56:57], v[185:186], v[56:57]
	s_waitcnt vmcnt(12)
	v_mul_f64 v[195:196], v[36:37], v[72:73]
	v_mul_f64 v[197:198], v[42:43], v[60:61]
	;; [unrolled: 1-line block ×4, first 2 shown]
	s_waitcnt lgkmcnt(5)
	v_mul_f64 v[72:73], v[163:164], v[72:73]
	v_mul_f64 v[68:69], v[144:145], v[68:69]
	;; [unrolled: 1-line block ×3, first 2 shown]
	s_waitcnt lgkmcnt(4)
	v_mul_f64 v[64:65], v[167:168], v[64:65]
	s_waitcnt vmcnt(11)
	v_mul_f64 v[205:206], v[28:29], v[86:87]
	s_waitcnt vmcnt(10)
	v_mul_f64 v[209:210], v[38:39], v[90:91]
	s_waitcnt lgkmcnt(3)
	v_mul_f64 v[86:87], v[171:172], v[86:87]
	v_mul_f64 v[90:91], v[165:166], v[90:91]
	s_waitcnt vmcnt(9)
	v_mul_f64 v[207:208], v[32:33], v[94:95]
	s_waitcnt vmcnt(8)
	v_mul_f64 v[203:204], v[34:35], v[98:99]
	v_mul_f64 v[98:99], v[161:162], v[98:99]
	s_waitcnt lgkmcnt(2)
	v_mul_f64 v[94:95], v[175:176], v[94:95]
	s_waitcnt vmcnt(4)
	v_mul_f64 v[211:212], v[20:21], v[114:115]
	v_mul_f64 v[213:214], v[26:27], v[102:103]
	;; [unrolled: 1-line block ×4, first 2 shown]
	s_waitcnt lgkmcnt(1)
	v_mul_f64 v[114:115], v[179:180], v[114:115]
	v_mul_f64 v[110:111], v[173:174], v[110:111]
	;; [unrolled: 1-line block ×3, first 2 shown]
	v_fma_f64 v[185:186], v[54:55], v[185:186], -v[193:194]
	s_waitcnt lgkmcnt(0)
	v_mul_f64 v[106:107], v[183:184], v[106:107]
	v_fma_f64 v[54:55], v[82:83], v[54:55], v[56:57]
	s_waitcnt vmcnt(3)
	v_mul_f64 v[56:57], v[18:19], v[118:119]
	s_waitcnt vmcnt(2)
	v_mul_f64 v[82:83], v[12:13], v[122:123]
	s_waitcnt vmcnt(1)
	v_mul_f64 v[193:194], v[24:25], v[126:127]
	v_fma_f64 v[140:141], v[78:79], v[140:141], -v[187:188]
	v_fma_f64 v[22:23], v[22:23], v[78:79], v[80:81]
	s_waitcnt vmcnt(0)
	v_mul_f64 v[78:79], v[14:15], v[130:131]
	v_mul_f64 v[80:81], v[177:178], v[118:119]
	v_fma_f64 v[118:119], v[74:75], v[146:147], -v[191:192]
	v_fma_f64 v[48:49], v[48:49], v[74:75], v[76:77]
	v_mul_f64 v[74:75], v[142:143], v[126:127]
	v_mul_f64 v[76:77], v[154:155], v[122:123]
	v_fma_f64 v[122:123], v[50:51], v[150:151], -v[189:190]
	v_fma_f64 v[44:45], v[44:45], v[50:51], v[52:53]
	v_mul_f64 v[50:51], v[181:182], v[130:131]
	v_fma_f64 v[52:53], v[70:71], v[163:164], -v[195:196]
	v_fma_f64 v[126:127], v[58:59], v[148:149], -v[197:198]
	v_fma_f64 v[130:131], v[66:67], v[144:145], -v[199:200]
	v_fma_f64 v[144:145], v[62:63], v[167:168], -v[201:202]
	v_fma_f64 v[36:37], v[36:37], v[70:71], v[72:73]
	v_fma_f64 v[46:47], v[46:47], v[66:67], v[68:69]
	;; [unrolled: 1-line block ×4, first 2 shown]
	v_fma_f64 v[60:61], v[84:85], v[171:172], -v[205:206]
	v_fma_f64 v[64:65], v[88:89], v[165:166], -v[209:210]
	v_fma_f64 v[34:35], v[34:35], v[96:97], v[98:99]
	v_fma_f64 v[32:33], v[32:33], v[92:93], v[94:95]
	;; [unrolled: 1-line block ×4, first 2 shown]
	v_fma_f64 v[66:67], v[112:113], v[179:180], -v[211:212]
	v_fma_f64 v[20:21], v[20:21], v[112:113], v[114:115]
	v_fma_f64 v[30:31], v[30:31], v[108:109], v[110:111]
	;; [unrolled: 1-line block ×4, first 2 shown]
	v_fma_f64 v[16:17], v[116:117], v[177:178], -v[56:57]
	v_fma_f64 v[56:57], v[120:121], v[154:155], -v[82:83]
	;; [unrolled: 1-line block ×4, first 2 shown]
	v_fma_f64 v[18:19], v[18:19], v[116:117], v[80:81]
	v_fma_f64 v[24:25], v[24:25], v[124:125], v[74:75]
	;; [unrolled: 1-line block ×4, first 2 shown]
	v_add_f64 v[14:15], v[140:141], -v[122:123]
	v_add_f64 v[50:51], v[118:119], -v[185:186]
	;; [unrolled: 1-line block ×4, first 2 shown]
	v_add_f64 v[94:95], v[122:123], v[152:153]
	v_add_f64 v[102:103], v[44:45], v[54:55]
	;; [unrolled: 1-line block ×3, first 2 shown]
	v_add_f64 v[112:113], v[52:53], -v[126:127]
	v_add_f64 v[114:115], v[130:131], -v[144:145]
	v_fma_f64 v[58:59], v[96:97], v[161:162], -v[203:204]
	v_fma_f64 v[62:63], v[92:93], v[175:176], -v[207:208]
	;; [unrolled: 1-line block ×5, first 2 shown]
	v_add_f64 v[76:77], v[122:123], v[185:186]
	v_add_f64 v[80:81], v[44:45], -v[54:55]
	v_add_f64 v[92:93], v[140:141], v[118:119]
	v_add_f64 v[96:97], v[22:23], -v[44:45]
	v_add_f64 v[106:107], v[44:45], -v[22:23]
	;; [unrolled: 1-line block ×3, first 2 shown]
	v_add_f64 v[44:45], v[10:11], v[44:45]
	v_add_f64 v[104:105], v[140:141], -v[118:119]
	v_add_f64 v[120:121], v[126:127], v[144:145]
	v_add_f64 v[124:125], v[126:127], -v[52:53]
	v_add_f64 v[128:129], v[144:145], -v[130:131]
	v_add_f64 v[142:143], v[52:53], v[130:131]
	v_add_f64 v[146:147], v[126:127], v[134:135]
	;; [unrolled: 1-line block ×3, first 2 shown]
	v_add_f64 v[163:164], v[42:43], -v[36:37]
	v_add_f64 v[165:166], v[40:41], -v[46:47]
	v_add_f64 v[193:194], v[28:29], v[38:39]
	v_add_f64 v[201:202], v[34:35], v[32:33]
	v_add_f64 v[211:212], v[26:27], -v[84:85]
	v_add_f64 v[221:222], v[20:21], -v[26:27]
	v_add_f64 v[225:226], v[26:27], v[84:85]
	v_add_f64 v[229:230], v[26:27], -v[20:21]
	v_add_f64 v[26:27], v[2:3], v[26:27]
	v_add_f64 v[241:242], v[56:57], v[78:79]
	v_fma_f64 v[102:103], v[102:103], -0.5, v[10:11]
	v_fma_f64 v[10:11], v[110:111], -0.5, v[10:11]
	v_add_f64 v[110:111], v[16:17], v[82:83]
	v_add_f64 v[50:51], v[14:15], v[50:51]
	v_add_f64 v[14:15], v[18:19], -v[12:13]
	v_add_f64 v[86:87], v[86:87], v[88:89]
	v_add_f64 v[88:89], v[24:25], -v[90:91]
	v_add_f64 v[94:95], v[140:141], v[94:95]
	v_add_f64 v[140:141], v[12:13], v[90:91]
	;; [unrolled: 1-line block ×4, first 2 shown]
	v_add_f64 v[74:75], v[22:23], -v[48:49]
	v_add_f64 v[100:101], v[122:123], -v[185:186]
	v_add_f64 v[167:168], v[36:37], v[46:47]
	v_add_f64 v[177:178], v[28:29], -v[38:39]
	v_add_f64 v[189:190], v[34:35], -v[28:29]
	;; [unrolled: 1-line block ×3, first 2 shown]
	v_add_f64 v[28:29], v[4:5], v[28:29]
	v_add_f64 v[209:210], v[68:69], v[72:73]
	v_add_f64 v[243:244], v[12:13], -v[90:91]
	v_fma_f64 v[76:77], v[76:77], -0.5, v[152:153]
	v_fma_f64 v[92:93], v[92:93], -0.5, v[152:153]
	v_add_f64 v[106:107], v[106:107], v[108:109]
	v_add_f64 v[108:109], v[12:13], -v[18:19]
	v_add_f64 v[22:23], v[22:23], v[44:45]
	v_add_f64 v[44:45], v[90:91], -v[24:25]
	;; [unrolled: 2-line block ×3, first 2 shown]
	v_add_f64 v[122:123], v[42:43], -v[40:41]
	v_add_f64 v[148:149], v[36:37], -v[42:43]
	v_add_f64 v[42:43], v[6:7], v[42:43]
	v_add_f64 v[175:176], v[60:61], v[64:65]
	;; [unrolled: 1-line block ×5, first 2 shown]
	v_add_f64 v[116:117], v[36:37], -v[46:47]
	v_add_f64 v[150:151], v[46:47], -v[40:41]
	;; [unrolled: 1-line block ×6, first 2 shown]
	v_add_f64 v[187:188], v[60:61], v[132:133]
	v_add_f64 v[191:192], v[32:33], -v[38:39]
	v_add_f64 v[60:61], v[60:61], -v[64:65]
	;; [unrolled: 1-line block ×5, first 2 shown]
	v_add_f64 v[233:234], v[20:21], v[30:31]
	v_add_f64 v[235:236], v[16:17], -v[56:57]
	v_add_f64 v[152:153], v[56:57], -v[16:17]
	;; [unrolled: 1-line block ×3, first 2 shown]
	v_fma_f64 v[120:121], v[120:121], -0.5, v[134:135]
	v_add_f64 v[124:125], v[124:125], v[128:129]
	v_fma_f64 v[128:129], v[142:143], -0.5, v[134:135]
	v_add_f64 v[52:53], v[52:53], v[146:147]
	;; [unrolled: 2-line block ×3, first 2 shown]
	v_fma_f64 v[163:164], v[193:194], -0.5, v[4:5]
	v_fma_f64 v[4:5], v[201:202], -0.5, v[4:5]
	v_add_f64 v[20:21], v[20:21], v[26:27]
	v_fma_f64 v[26:27], v[241:242], -0.5, v[136:137]
	v_fma_f64 v[110:111], v[110:111], -0.5, v[136:137]
	v_add_f64 v[136:137], v[14:15], v[88:89]
	v_fma_f64 v[14:15], v[140:141], -0.5, v[0:1]
	v_fma_f64 v[0:1], v[114:115], -0.5, v[0:1]
	v_add_f64 v[126:127], v[126:127], -v[144:145]
	v_add_f64 v[173:174], v[34:35], -v[32:33]
	v_add_f64 v[217:218], v[66:67], v[70:71]
	v_add_f64 v[239:240], v[18:19], -v[24:25]
	v_fma_f64 v[6:7], v[167:168], -0.5, v[6:7]
	v_add_f64 v[28:29], v[34:35], v[28:29]
	v_fma_f64 v[34:35], v[209:210], -0.5, v[138:139]
	v_add_f64 v[108:109], v[108:109], v[44:45]
	v_add_f64 v[12:13], v[18:19], v[12:13]
	v_fma_f64 v[18:19], v[74:75], s[6:7], v[76:77]
	v_fma_f64 v[44:45], v[74:75], s[8:9], v[76:77]
	;; [unrolled: 1-line block ×4, first 2 shown]
	v_add_f64 v[92:93], v[118:119], v[94:95]
	v_fma_f64 v[94:95], v[104:105], s[8:9], v[102:103]
	v_fma_f64 v[114:115], v[100:101], s[6:7], v[10:11]
	;; [unrolled: 1-line block ×3, first 2 shown]
	v_add_f64 v[203:204], v[66:67], -v[68:69]
	v_add_f64 v[205:206], v[70:71], -v[72:73]
	;; [unrolled: 1-line block ×3, first 2 shown]
	v_add_f64 v[96:97], v[96:97], v[98:99]
	v_add_f64 v[98:99], v[16:17], -v[82:83]
	v_add_f64 v[36:37], v[36:37], v[42:43]
	v_fma_f64 v[42:43], v[175:176], -0.5, v[132:133]
	v_fma_f64 v[132:133], v[183:184], -0.5, v[132:133]
	v_add_f64 v[66:67], v[66:67], v[219:220]
	v_fma_f64 v[175:176], v[225:226], -0.5, v[2:3]
	v_add_f64 v[16:17], v[16:17], v[247:248]
	v_add_f64 v[195:196], v[58:59], -v[62:63]
	v_add_f64 v[199:200], v[38:39], -v[32:33]
	;; [unrolled: 1-line block ×4, first 2 shown]
	v_add_f64 v[134:135], v[148:149], v[150:151]
	v_add_f64 v[148:149], v[169:170], v[171:172]
	;; [unrolled: 1-line block ×4, first 2 shown]
	v_fma_f64 v[2:3], v[233:234], -0.5, v[2:3]
	v_fma_f64 v[102:103], v[104:105], s[6:7], v[102:103]
	v_add_f64 v[22:23], v[22:23], v[48:49]
	v_fma_f64 v[48:49], v[116:117], s[6:7], v[120:121]
	v_fma_f64 v[118:119], v[116:117], s[8:9], v[120:121]
	;; [unrolled: 1-line block ×3, first 2 shown]
	v_add_f64 v[52:53], v[130:131], v[52:53]
	v_fma_f64 v[130:131], v[161:162], s[8:9], v[142:143]
	v_fma_f64 v[189:190], v[60:61], s[6:7], v[4:5]
	;; [unrolled: 1-line block ×7, first 2 shown]
	v_fma_f64 v[138:139], v[217:218], -0.5, v[138:139]
	v_fma_f64 v[140:141], v[161:162], s[6:7], v[142:143]
	v_fma_f64 v[142:143], v[126:127], s[6:7], v[6:7]
	v_add_f64 v[28:29], v[28:29], v[32:33]
	v_fma_f64 v[32:33], v[207:208], s[6:7], v[34:35]
	v_fma_f64 v[34:35], v[207:208], s[8:9], v[34:35]
	v_fma_f64 v[18:19], v[80:81], s[2:3], v[18:19]
	v_fma_f64 v[44:45], v[80:81], s[4:5], v[44:45]
	v_fma_f64 v[80:81], v[100:101], s[4:5], v[94:95]
	v_fma_f64 v[94:95], v[104:105], s[2:3], v[10:11]
	v_add_f64 v[181:182], v[64:65], -v[62:63]
	v_add_f64 v[223:224], v[30:31], -v[84:85]
	;; [unrolled: 1-line block ×4, first 2 shown]
	v_add_f64 v[58:59], v[58:59], v[187:188]
	v_add_f64 v[167:168], v[203:204], v[205:206]
	v_fma_f64 v[183:184], v[126:127], s[8:9], v[6:7]
	v_add_f64 v[36:37], v[36:37], v[46:47]
	v_fma_f64 v[46:47], v[173:174], s[6:7], v[42:43]
	v_fma_f64 v[42:43], v[173:174], s[8:9], v[42:43]
	;; [unrolled: 1-line block ×3, first 2 shown]
	v_add_f64 v[66:67], v[70:71], v[66:67]
	v_fma_f64 v[70:71], v[227:228], s[8:9], v[175:176]
	v_fma_f64 v[175:176], v[227:228], s[6:7], v[175:176]
	v_add_f64 v[20:21], v[20:21], v[30:31]
	v_fma_f64 v[30:31], v[239:240], s[6:7], v[26:27]
	v_fma_f64 v[26:27], v[239:240], s[8:9], v[26:27]
	v_fma_f64 v[203:204], v[98:99], s[8:9], v[14:15]
	v_fma_f64 v[205:206], v[98:99], s[6:7], v[14:15]
	v_add_f64 v[82:83], v[82:83], v[16:17]
	v_add_f64 v[215:216], v[12:13], v[24:25]
	;; [unrolled: 1-line block ×4, first 2 shown]
	v_fma_f64 v[197:198], v[68:69], s[6:7], v[2:3]
	v_fma_f64 v[199:200], v[68:69], s[8:9], v[2:3]
	;; [unrolled: 1-line block ×4, first 2 shown]
	v_add_f64 v[2:3], v[185:186], v[92:93]
	v_fma_f64 v[88:89], v[100:101], s[2:3], v[102:103]
	v_fma_f64 v[92:93], v[104:105], s[4:5], v[114:115]
	;; [unrolled: 1-line block ×16, first 2 shown]
	v_mul_hi_u32 v94, 0xa01a01a1, v249
	v_add_f64 v[150:151], v[179:180], v[181:182]
	v_add_f64 v[181:182], v[235:236], v[237:238]
	v_add_f64 v[0:1], v[22:23], v[54:55]
	v_fma_f64 v[54:55], v[122:123], s[4:5], v[118:119]
	v_fma_f64 v[114:115], v[126:127], s[2:3], v[140:141]
	v_fma_f64 v[118:119], v[161:162], s[2:3], v[183:184]
	v_fma_f64 v[120:121], v[177:178], s[2:3], v[46:47]
	v_fma_f64 v[122:123], v[177:178], s[4:5], v[42:43]
	v_fma_f64 v[126:127], v[173:174], s[2:3], v[187:188]
	v_fma_f64 v[161:162], v[68:69], s[2:3], v[175:176]
	v_fma_f64 v[175:176], v[243:244], s[2:3], v[30:31]
	v_fma_f64 v[177:178], v[243:244], s[4:5], v[26:27]
	v_fma_f64 v[185:186], v[56:57], s[4:5], v[203:204]
	v_fma_f64 v[187:188], v[56:57], s[2:3], v[205:206]
	v_fma_f64 v[183:184], v[239:240], s[2:3], v[201:202]
	v_add_f64 v[14:15], v[20:21], v[84:85]
	v_add_f64 v[20:21], v[78:79], v[82:83]
	v_fma_f64 v[24:25], v[50:51], s[0:1], v[18:19]
	v_add_f64 v[18:19], v[215:216], v[90:91]
	v_lshlrev_b64 v[90:91], 4, v[156:157]
	v_fma_f64 v[191:192], v[60:61], s[8:9], v[4:5]
	v_add_f64 v[4:5], v[36:37], v[40:41]
	v_fma_f64 v[40:41], v[112:113], s[0:1], v[48:49]
	v_fma_f64 v[48:49], v[124:125], s[0:1], v[100:101]
	;; [unrolled: 1-line block ×4, first 2 shown]
	v_add_co_u32 v95, vcc_lo, s10, v158
	v_add_f64 v[6:7], v[144:145], v[52:53]
	v_fma_f64 v[52:53], v[124:125], s[0:1], v[102:103]
	v_sub_nc_u32_e32 v103, v249, v94
	v_add_co_ci_u32_e32 v102, vcc_lo, s11, v159, vcc_lo
	v_fma_f64 v[30:31], v[106:107], s[0:1], v[92:93]
	v_add_co_u32 v106, vcc_lo, v95, v90
	v_lshrrev_b32_e32 v90, 1, v103
	v_add_f64 v[58:59], v[62:63], v[58:59]
	v_fma_f64 v[62:63], v[195:196], s[8:9], v[163:164]
	v_fma_f64 v[163:164], v[195:196], s[6:7], v[163:164]
	v_add_co_ci_u32_e32 v107, vcc_lo, v102, v91, vcc_lo
	v_add_co_u32 v102, vcc_lo, v106, v8
	v_add_nc_u32_e32 v8, v90, v94
	v_add_co_ci_u32_e32 v103, vcc_lo, 0, v107, vcc_lo
	v_add_f64 v[179:180], v[229:230], v[231:232]
	v_fma_f64 v[128:129], v[173:174], s[4:5], v[132:133]
	v_add_f64 v[10:11], v[28:29], v[38:39]
	v_fma_f64 v[138:139], v[207:208], s[4:5], v[138:139]
	v_fma_f64 v[173:174], v[227:228], s[2:3], v[199:200]
	;; [unrolled: 1-line block ×3, first 2 shown]
	v_add_co_u32 v104, vcc_lo, 0x1000, v102
	v_lshrrev_b32_e32 v8, 8, v8
	v_fma_f64 v[140:141], v[211:212], s[2:3], v[32:33]
	v_fma_f64 v[32:33], v[86:87], s[0:1], v[76:77]
	;; [unrolled: 1-line block ×7, first 2 shown]
	v_add_co_ci_u32_e32 v105, vcc_lo, 0, v103, vcc_lo
	v_fma_f64 v[90:91], v[136:137], s[0:1], v[187:188]
	v_fma_f64 v[22:23], v[96:97], s[0:1], v[80:81]
	;; [unrolled: 1-line block ×4, first 2 shown]
	global_store_dwordx4 v[102:103], v[18:21], off
	global_store_dwordx4 v[104:105], v[98:101], off offset:944
	v_mul_u32_u24_e32 v20, 0x13b, v8
	v_add_co_u32 v18, vcc_lo, 0x2000, v102
	v_add_nc_u32_e32 v104, 0x7e, v160
	v_add_co_ci_u32_e32 v19, vcc_lo, 0, v103, vcc_lo
	v_sub_nc_u32_e32 v98, v249, v20
	v_add_f64 v[171:172], v[221:222], v[223:224]
	v_fma_f64 v[70:71], v[68:69], s[4:5], v[70:71]
	v_add_co_u32 v20, vcc_lo, 0x3800, v102
	v_add_f64 v[12:13], v[64:65], v[58:59]
	v_fma_f64 v[58:59], v[60:61], s[4:5], v[62:63]
	v_fma_f64 v[62:63], v[60:61], s[2:3], v[163:164]
	;; [unrolled: 1-line block ×4, first 2 shown]
	v_add_co_ci_u32_e32 v21, vcc_lo, 0, v103, vcc_lo
	v_mad_u32_u24 v8, 0x627, v8, v98
	v_add_co_u32 v98, vcc_lo, 0x4800, v102
	v_mul_hi_u32 v102, 0xa01a01a1, v104
	v_add_f64 v[16:17], v[72:73], v[66:67]
	v_add_co_ci_u32_e32 v99, vcc_lo, 0, v103, vcc_lo
	v_fma_f64 v[84:85], v[169:170], s[0:1], v[138:139]
	v_fma_f64 v[82:83], v[179:180], s[0:1], v[173:174]
	global_store_dwordx4 v[18:19], v[90:93], off offset:1888
	global_store_dwordx4 v[20:21], v[86:89], off offset:784
	;; [unrolled: 1-line block ×3, first 2 shown]
	v_sub_nc_u32_e32 v86, v104, v102
	v_add_nc_u32_e32 v100, 0x13b, v8
	v_mov_b32_e32 v101, v9
	v_lshlrev_b64 v[18:19], 4, v[8:9]
	v_fma_f64 v[132:133], v[195:196], s[2:3], v[191:192]
	v_lshrrev_b32_e32 v87, 1, v86
	v_add_nc_u32_e32 v86, 0x276, v8
	v_lshlrev_b64 v[20:21], 4, v[100:101]
	v_fma_f64 v[72:73], v[167:168], s[0:1], v[140:141]
	v_add_co_u32 v18, vcc_lo, v106, v18
	v_add_co_ci_u32_e32 v19, vcc_lo, v107, v19, vcc_lo
	v_add_nc_u32_e32 v90, v87, v102
	v_mov_b32_e32 v87, v9
	v_fma_f64 v[76:77], v[167:168], s[0:1], v[142:143]
	v_fma_f64 v[70:71], v[171:172], s[0:1], v[70:71]
	;; [unrolled: 1-line block ×5, first 2 shown]
	v_add_co_u32 v20, vcc_lo, v106, v20
	v_add_nc_u32_e32 v88, 0x3b1, v8
	v_mov_b32_e32 v89, v9
	v_add_co_ci_u32_e32 v21, vcc_lo, v107, v21, vcc_lo
	global_store_dwordx4 v[18:19], v[14:17], off
	v_lshrrev_b32_e32 v90, 8, v90
	v_lshlrev_b64 v[14:15], 4, v[86:87]
	v_add_nc_u32_e32 v8, 0x4ec, v8
	v_lshlrev_b64 v[16:17], 4, v[88:89]
	global_store_dwordx4 v[20:21], v[82:85], off
	v_mul_u32_u24_e32 v20, 0x13b, v90
	v_add_nc_u32_e32 v82, 0xbd, v160
	v_add_co_u32 v14, vcc_lo, v106, v14
	v_lshlrev_b64 v[18:19], 4, v[8:9]
	v_add_co_ci_u32_e32 v15, vcc_lo, v107, v15, vcc_lo
	v_add_co_u32 v16, vcc_lo, v106, v16
	v_sub_nc_u32_e32 v8, v104, v20
	v_mul_hi_u32 v83, 0xa01a01a1, v82
	v_add_co_ci_u32_e32 v17, vcc_lo, v107, v17, vcc_lo
	v_add_co_u32 v18, vcc_lo, v106, v18
	v_add_co_ci_u32_e32 v19, vcc_lo, v107, v19, vcc_lo
	v_mad_u32_u24 v8, 0x627, v90, v8
	v_fma_f64 v[68:69], v[150:151], s[0:1], v[128:129]
	v_fma_f64 v[66:67], v[165:166], s[0:1], v[132:133]
	global_store_dwordx4 v[14:15], v[74:77], off
	global_store_dwordx4 v[16:17], v[70:73], off
	;; [unrolled: 1-line block ×3, first 2 shown]
	v_sub_nc_u32_e32 v18, v82, v83
	v_add_nc_u32_e32 v20, 0x13b, v8
	v_mov_b32_e32 v21, v9
	v_lshlrev_b64 v[14:15], 4, v[8:9]
	v_fma_f64 v[28:29], v[50:51], s[0:1], v[44:45]
	v_lshrrev_b32_e32 v19, 1, v18
	v_add_nc_u32_e32 v18, 0x276, v8
	v_lshlrev_b64 v[16:17], 4, v[20:21]
	v_fma_f64 v[44:45], v[112:113], s[0:1], v[54:55]
	v_add_co_u32 v14, vcc_lo, v106, v14
	v_add_co_ci_u32_e32 v15, vcc_lo, v107, v15, vcc_lo
	v_add_nc_u32_e32 v70, v19, v83
	v_mov_b32_e32 v19, v9
	v_fma_f64 v[56:57], v[148:149], s[0:1], v[120:121]
	v_fma_f64 v[60:61], v[148:149], s[0:1], v[122:123]
	;; [unrolled: 1-line block ×6, first 2 shown]
	v_add_co_u32 v16, vcc_lo, v106, v16
	v_add_nc_u32_e32 v20, 0x3b1, v8
	v_add_co_ci_u32_e32 v17, vcc_lo, v107, v17, vcc_lo
	global_store_dwordx4 v[14:15], v[10:13], off
	v_lshrrev_b32_e32 v70, 8, v70
	v_lshlrev_b64 v[10:11], 4, v[18:19]
	v_add_nc_u32_e32 v8, 0x4ec, v8
	v_lshlrev_b64 v[12:13], 4, v[20:21]
	global_store_dwordx4 v[16:17], v[66:69], off
	v_mul_u32_u24_e32 v16, 0x13b, v70
	v_add_nc_u32_e32 v18, 0xfc, v160
	v_add_co_u32 v10, vcc_lo, v106, v10
	v_lshlrev_b64 v[14:15], 4, v[8:9]
	v_add_co_ci_u32_e32 v11, vcc_lo, v107, v11, vcc_lo
	v_add_co_u32 v12, vcc_lo, v106, v12
	v_sub_nc_u32_e32 v8, v82, v16
	v_mul_hi_u32 v19, 0xa01a01a1, v18
	v_add_co_ci_u32_e32 v13, vcc_lo, v107, v13, vcc_lo
	v_add_co_u32 v14, vcc_lo, v106, v14
	v_add_co_ci_u32_e32 v15, vcc_lo, v107, v15, vcc_lo
	v_mad_u32_u24 v8, 0x627, v70, v8
	v_fma_f64 v[50:51], v[146:147], s[0:1], v[118:119]
	global_store_dwordx4 v[10:11], v[58:61], off
	global_store_dwordx4 v[12:13], v[54:57], off
	;; [unrolled: 1-line block ×3, first 2 shown]
	v_sub_nc_u32_e32 v14, v18, v19
	v_add_nc_u32_e32 v16, 0x13b, v8
	v_mov_b32_e32 v17, v9
	v_lshlrev_b64 v[10:11], 4, v[8:9]
	v_fma_f64 v[42:43], v[134:135], s[0:1], v[114:115]
	v_lshrrev_b32_e32 v15, 1, v14
	v_add_nc_u32_e32 v14, 0x276, v8
	v_lshlrev_b64 v[12:13], 4, v[16:17]
	v_fma_f64 v[46:47], v[146:147], s[0:1], v[116:117]
	v_add_co_u32 v10, vcc_lo, v106, v10
	v_add_nc_u32_e32 v19, v15, v19
	v_add_co_ci_u32_e32 v11, vcc_lo, v107, v11, vcc_lo
	v_add_co_u32 v12, vcc_lo, v106, v12
	v_mov_b32_e32 v15, v9
	v_add_co_ci_u32_e32 v13, vcc_lo, v107, v13, vcc_lo
	v_lshrrev_b32_e32 v19, 8, v19
	v_add_nc_u32_e32 v16, 0x3b1, v8
	global_store_dwordx4 v[10:11], v[4:7], off
	v_lshlrev_b64 v[4:5], 4, v[14:15]
	global_store_dwordx4 v[12:13], v[50:53], off
	v_add_nc_u32_e32 v8, 0x4ec, v8
	v_mul_u32_u24_e32 v12, 0x13b, v19
	v_lshlrev_b64 v[6:7], 4, v[16:17]
	v_mov_b32_e32 v13, v9
	v_add_co_u32 v4, vcc_lo, v106, v4
	v_lshlrev_b64 v[10:11], 4, v[8:9]
	v_sub_nc_u32_e32 v8, v18, v12
	v_add_co_ci_u32_e32 v5, vcc_lo, v107, v5, vcc_lo
	v_add_co_u32 v6, vcc_lo, v106, v6
	v_add_co_ci_u32_e32 v7, vcc_lo, v107, v7, vcc_lo
	v_mad_u32_u24 v8, 0x627, v19, v8
	v_add_co_u32 v10, vcc_lo, v106, v10
	v_add_co_ci_u32_e32 v11, vcc_lo, v107, v11, vcc_lo
	v_add_nc_u32_e32 v12, 0x13b, v8
	global_store_dwordx4 v[4:5], v[42:45], off
	global_store_dwordx4 v[6:7], v[38:41], off
	v_lshlrev_b64 v[4:5], 4, v[8:9]
	global_store_dwordx4 v[10:11], v[46:49], off
	v_add_nc_u32_e32 v10, 0x276, v8
	v_mov_b32_e32 v11, v9
	v_lshlrev_b64 v[6:7], 4, v[12:13]
	v_add_nc_u32_e32 v12, 0x3b1, v8
	v_add_co_u32 v4, vcc_lo, v106, v4
	v_lshlrev_b64 v[10:11], 4, v[10:11]
	v_add_nc_u32_e32 v8, 0x4ec, v8
	v_add_co_ci_u32_e32 v5, vcc_lo, v107, v5, vcc_lo
	v_add_co_u32 v6, vcc_lo, v106, v6
	v_lshlrev_b64 v[12:13], 4, v[12:13]
	v_add_co_ci_u32_e32 v7, vcc_lo, v107, v7, vcc_lo
	v_add_co_u32 v10, vcc_lo, v106, v10
	v_lshlrev_b64 v[8:9], 4, v[8:9]
	v_add_co_ci_u32_e32 v11, vcc_lo, v107, v11, vcc_lo
	v_add_co_u32 v12, vcc_lo, v106, v12
	v_add_co_ci_u32_e32 v13, vcc_lo, v107, v13, vcc_lo
	v_add_co_u32 v8, vcc_lo, v106, v8
	v_add_co_ci_u32_e32 v9, vcc_lo, v107, v9, vcc_lo
	global_store_dwordx4 v[4:5], v[0:3], off
	global_store_dwordx4 v[6:7], v[34:37], off
	;; [unrolled: 1-line block ×5, first 2 shown]
.LBB0_37:
	s_endpgm
	.section	.rodata,"a",@progbits
	.p2align	6, 0x0
	.amdhsa_kernel fft_rtc_back_len1575_factors_3_3_5_7_5_wgs_63_tpt_63_halfLds_dp_op_CI_CI_unitstride_sbrr_dirReg
		.amdhsa_group_segment_fixed_size 0
		.amdhsa_private_segment_fixed_size 0
		.amdhsa_kernarg_size 104
		.amdhsa_user_sgpr_count 6
		.amdhsa_user_sgpr_private_segment_buffer 1
		.amdhsa_user_sgpr_dispatch_ptr 0
		.amdhsa_user_sgpr_queue_ptr 0
		.amdhsa_user_sgpr_kernarg_segment_ptr 1
		.amdhsa_user_sgpr_dispatch_id 0
		.amdhsa_user_sgpr_flat_scratch_init 0
		.amdhsa_user_sgpr_private_segment_size 0
		.amdhsa_wavefront_size32 1
		.amdhsa_uses_dynamic_stack 0
		.amdhsa_system_sgpr_private_segment_wavefront_offset 0
		.amdhsa_system_sgpr_workgroup_id_x 1
		.amdhsa_system_sgpr_workgroup_id_y 0
		.amdhsa_system_sgpr_workgroup_id_z 0
		.amdhsa_system_sgpr_workgroup_info 0
		.amdhsa_system_vgpr_workitem_id 0
		.amdhsa_next_free_vgpr 256
		.amdhsa_next_free_sgpr 28
		.amdhsa_reserve_vcc 1
		.amdhsa_reserve_flat_scratch 0
		.amdhsa_float_round_mode_32 0
		.amdhsa_float_round_mode_16_64 0
		.amdhsa_float_denorm_mode_32 3
		.amdhsa_float_denorm_mode_16_64 3
		.amdhsa_dx10_clamp 1
		.amdhsa_ieee_mode 1
		.amdhsa_fp16_overflow 0
		.amdhsa_workgroup_processor_mode 1
		.amdhsa_memory_ordered 1
		.amdhsa_forward_progress 0
		.amdhsa_shared_vgpr_count 0
		.amdhsa_exception_fp_ieee_invalid_op 0
		.amdhsa_exception_fp_denorm_src 0
		.amdhsa_exception_fp_ieee_div_zero 0
		.amdhsa_exception_fp_ieee_overflow 0
		.amdhsa_exception_fp_ieee_underflow 0
		.amdhsa_exception_fp_ieee_inexact 0
		.amdhsa_exception_int_div_zero 0
	.end_amdhsa_kernel
	.text
.Lfunc_end0:
	.size	fft_rtc_back_len1575_factors_3_3_5_7_5_wgs_63_tpt_63_halfLds_dp_op_CI_CI_unitstride_sbrr_dirReg, .Lfunc_end0-fft_rtc_back_len1575_factors_3_3_5_7_5_wgs_63_tpt_63_halfLds_dp_op_CI_CI_unitstride_sbrr_dirReg
                                        ; -- End function
	.section	.AMDGPU.csdata,"",@progbits
; Kernel info:
; codeLenInByte = 20688
; NumSgprs: 30
; NumVgprs: 256
; ScratchSize: 0
; MemoryBound: 1
; FloatMode: 240
; IeeeMode: 1
; LDSByteSize: 0 bytes/workgroup (compile time only)
; SGPRBlocks: 3
; VGPRBlocks: 31
; NumSGPRsForWavesPerEU: 30
; NumVGPRsForWavesPerEU: 256
; Occupancy: 4
; WaveLimiterHint : 1
; COMPUTE_PGM_RSRC2:SCRATCH_EN: 0
; COMPUTE_PGM_RSRC2:USER_SGPR: 6
; COMPUTE_PGM_RSRC2:TRAP_HANDLER: 0
; COMPUTE_PGM_RSRC2:TGID_X_EN: 1
; COMPUTE_PGM_RSRC2:TGID_Y_EN: 0
; COMPUTE_PGM_RSRC2:TGID_Z_EN: 0
; COMPUTE_PGM_RSRC2:TIDIG_COMP_CNT: 0
	.text
	.p2alignl 6, 3214868480
	.fill 48, 4, 3214868480
	.type	__hip_cuid_f6dc751458c277ff,@object ; @__hip_cuid_f6dc751458c277ff
	.section	.bss,"aw",@nobits
	.globl	__hip_cuid_f6dc751458c277ff
__hip_cuid_f6dc751458c277ff:
	.byte	0                               ; 0x0
	.size	__hip_cuid_f6dc751458c277ff, 1

	.ident	"AMD clang version 19.0.0git (https://github.com/RadeonOpenCompute/llvm-project roc-6.4.0 25133 c7fe45cf4b819c5991fe208aaa96edf142730f1d)"
	.section	".note.GNU-stack","",@progbits
	.addrsig
	.addrsig_sym __hip_cuid_f6dc751458c277ff
	.amdgpu_metadata
---
amdhsa.kernels:
  - .args:
      - .actual_access:  read_only
        .address_space:  global
        .offset:         0
        .size:           8
        .value_kind:     global_buffer
      - .offset:         8
        .size:           8
        .value_kind:     by_value
      - .actual_access:  read_only
        .address_space:  global
        .offset:         16
        .size:           8
        .value_kind:     global_buffer
      - .actual_access:  read_only
        .address_space:  global
        .offset:         24
        .size:           8
        .value_kind:     global_buffer
      - .actual_access:  read_only
        .address_space:  global
        .offset:         32
        .size:           8
        .value_kind:     global_buffer
      - .offset:         40
        .size:           8
        .value_kind:     by_value
      - .actual_access:  read_only
        .address_space:  global
        .offset:         48
        .size:           8
        .value_kind:     global_buffer
      - .actual_access:  read_only
        .address_space:  global
        .offset:         56
        .size:           8
        .value_kind:     global_buffer
      - .offset:         64
        .size:           4
        .value_kind:     by_value
      - .actual_access:  read_only
        .address_space:  global
        .offset:         72
        .size:           8
        .value_kind:     global_buffer
      - .actual_access:  read_only
        .address_space:  global
        .offset:         80
        .size:           8
        .value_kind:     global_buffer
      - .actual_access:  read_only
        .address_space:  global
        .offset:         88
        .size:           8
        .value_kind:     global_buffer
      - .actual_access:  write_only
        .address_space:  global
        .offset:         96
        .size:           8
        .value_kind:     global_buffer
    .group_segment_fixed_size: 0
    .kernarg_segment_align: 8
    .kernarg_segment_size: 104
    .language:       OpenCL C
    .language_version:
      - 2
      - 0
    .max_flat_workgroup_size: 63
    .name:           fft_rtc_back_len1575_factors_3_3_5_7_5_wgs_63_tpt_63_halfLds_dp_op_CI_CI_unitstride_sbrr_dirReg
    .private_segment_fixed_size: 0
    .sgpr_count:     30
    .sgpr_spill_count: 0
    .symbol:         fft_rtc_back_len1575_factors_3_3_5_7_5_wgs_63_tpt_63_halfLds_dp_op_CI_CI_unitstride_sbrr_dirReg.kd
    .uniform_work_group_size: 1
    .uses_dynamic_stack: false
    .vgpr_count:     256
    .vgpr_spill_count: 0
    .wavefront_size: 32
    .workgroup_processor_mode: 1
amdhsa.target:   amdgcn-amd-amdhsa--gfx1030
amdhsa.version:
  - 1
  - 2
...

	.end_amdgpu_metadata
